;; amdgpu-corpus repo=ROCm/rocFFT kind=compiled arch=gfx1030 opt=O3
	.text
	.amdgcn_target "amdgcn-amd-amdhsa--gfx1030"
	.amdhsa_code_object_version 6
	.protected	bluestein_single_back_len484_dim1_half_op_CI_CI ; -- Begin function bluestein_single_back_len484_dim1_half_op_CI_CI
	.globl	bluestein_single_back_len484_dim1_half_op_CI_CI
	.p2align	8
	.type	bluestein_single_back_len484_dim1_half_op_CI_CI,@function
bluestein_single_back_len484_dim1_half_op_CI_CI: ; @bluestein_single_back_len484_dim1_half_op_CI_CI
; %bb.0:
	s_load_dwordx4 s[8:11], s[4:5], 0x28
	v_mul_u32_u24_e32 v1, 0x5d2, v0
	v_mov_b32_e32 v19, 0
	s_mov_b32 s0, exec_lo
	v_lshrrev_b32_e32 v1, 16, v1
	v_add_nc_u32_e32 v18, s6, v1
	s_waitcnt lgkmcnt(0)
	v_cmpx_gt_u64_e64 s[8:9], v[18:19]
	s_cbranch_execz .LBB0_15
; %bb.1:
	s_clause 0x1
	s_load_dwordx4 s[0:3], s[4:5], 0x18
	s_load_dwordx2 s[16:17], s[4:5], 0x0
	v_mul_lo_u16 v1, v1, 44
	v_sub_nc_u16 v7, v0, v1
	v_and_b32_e32 v37, 0xffff, v7
	v_lshlrev_b32_e32 v31, 2, v37
	s_waitcnt lgkmcnt(0)
	s_load_dwordx4 s[12:15], s[0:1], 0x0
	s_clause 0x4
	global_load_dword v40, v31, s[16:17]
	global_load_dword v39, v31, s[16:17] offset:484
	global_load_dword v32, v31, s[16:17] offset:1628
	;; [unrolled: 1-line block ×4, first 2 shown]
	s_waitcnt lgkmcnt(0)
	v_mad_u64_u32 v[0:1], null, s14, v18, 0
	v_mad_u64_u32 v[2:3], null, s12, v37, 0
	s_mul_i32 s1, s13, 0x79
	s_mul_hi_u32 s6, s12, 0x79
	s_mul_i32 s0, s12, 0x79
	s_add_i32 s1, s6, s1
	v_mad_u64_u32 v[4:5], null, s15, v18, v[1:2]
	s_lshl_b64 s[14:15], s[0:1], 2
	s_mul_hi_u32 s0, s12, 0xfffffec1
	s_mul_i32 s1, s13, 0xfffffec1
	s_sub_i32 s6, s0, s12
	s_mul_i32 s0, s12, 0xfffffec1
	s_add_i32 s1, s6, s1
	v_mad_u64_u32 v[5:6], null, s13, v37, v[3:4]
	v_mov_b32_e32 v1, v4
	s_lshl_b64 s[0:1], s[0:1], 2
	v_lshlrev_b64 v[0:1], 2, v[0:1]
	v_mov_b32_e32 v3, v5
	v_add_co_u32 v0, vcc_lo, s10, v0
	v_lshlrev_b64 v[2:3], 2, v[2:3]
	v_add_co_ci_u32_e32 v1, vcc_lo, s11, v1, vcc_lo
	v_add_co_u32 v0, vcc_lo, v0, v2
	v_add_co_ci_u32_e32 v1, vcc_lo, v1, v3, vcc_lo
	s_clause 0x1
	global_load_dword v38, v31, s[16:17] offset:968
	global_load_dword v34, v31, s[16:17] offset:660
	global_load_dword v6, v[0:1], off
	v_add_co_u32 v2, vcc_lo, v0, s14
	v_add_co_ci_u32_e32 v3, vcc_lo, s15, v1, vcc_lo
	global_load_dword v35, v31, s[16:17] offset:176
	v_add_co_u32 v0, vcc_lo, v2, s14
	v_add_co_ci_u32_e32 v1, vcc_lo, s15, v3, vcc_lo
	s_clause 0x1
	global_load_dword v8, v[2:3], off
	global_load_dword v9, v[0:1], off
	v_add_co_u32 v2, vcc_lo, v0, s14
	v_add_co_ci_u32_e32 v3, vcc_lo, s15, v1, vcc_lo
	v_add_co_u32 v0, vcc_lo, v2, s0
	v_add_co_ci_u32_e32 v1, vcc_lo, s1, v3, vcc_lo
	s_clause 0x1
	global_load_dword v10, v[2:3], off
	global_load_dword v11, v[0:1], off
	v_add_co_u32 v2, vcc_lo, v0, s14
	v_add_co_ci_u32_e32 v3, vcc_lo, s15, v1, vcc_lo
	v_add_co_u32 v4, vcc_lo, v2, s14
	v_add_co_ci_u32_e32 v5, vcc_lo, s15, v3, vcc_lo
	global_load_dword v2, v[2:3], off
	v_add_co_u32 v0, vcc_lo, v4, s14
	v_add_co_ci_u32_e32 v1, vcc_lo, s15, v5, vcc_lo
	global_load_dword v3, v[4:5], off
	global_load_dword v4, v[0:1], off
	s_load_dwordx2 s[6:7], s[4:5], 0x38
	s_load_dwordx4 s[8:11], s[2:3], 0x0
	v_add_co_u32 v16, s2, s16, v31
	v_add_co_ci_u32_e64 v17, null, s17, 0, s2
	v_cmp_gt_u16_e32 vcc_lo, 33, v7
	s_waitcnt vmcnt(8)
	v_lshrrev_b32_e32 v5, 16, v6
	v_mul_f16_sdwa v12, v40, v6 dst_sel:DWORD dst_unused:UNUSED_PAD src0_sel:WORD_1 src1_sel:DWORD
	v_mul_f16_sdwa v13, v40, v5 dst_sel:DWORD dst_unused:UNUSED_PAD src0_sel:WORD_1 src1_sel:DWORD
	v_fma_f16 v5, v40, v5, -v12
	s_waitcnt vmcnt(6)
	v_lshrrev_b32_e32 v14, 16, v8
	v_mul_f16_sdwa v15, v39, v8 dst_sel:DWORD dst_unused:UNUSED_PAD src0_sel:WORD_1 src1_sel:DWORD
	v_fmac_f16_e32 v13, v40, v6
	s_waitcnt vmcnt(5)
	v_lshrrev_b32_e32 v12, 16, v9
	v_mul_f16_sdwa v6, v39, v14 dst_sel:DWORD dst_unused:UNUSED_PAD src0_sel:WORD_1 src1_sel:DWORD
	v_fma_f16 v14, v39, v14, -v15
	v_mul_f16_sdwa v15, v38, v9 dst_sel:DWORD dst_unused:UNUSED_PAD src0_sel:WORD_1 src1_sel:DWORD
	v_pack_b32_f16 v5, v13, v5
	v_fmac_f16_e32 v6, v39, v8
	v_mul_f16_sdwa v8, v38, v12 dst_sel:DWORD dst_unused:UNUSED_PAD src0_sel:WORD_1 src1_sel:DWORD
	v_fma_f16 v12, v38, v12, -v15
	s_waitcnt vmcnt(4)
	v_lshrrev_b32_e32 v13, 16, v10
	v_mul_f16_sdwa v19, v36, v10 dst_sel:DWORD dst_unused:UNUSED_PAD src0_sel:WORD_1 src1_sel:DWORD
	v_pack_b32_f16 v6, v6, v14
	v_fmac_f16_e32 v8, v38, v9
	s_waitcnt vmcnt(3)
	v_lshrrev_b32_e32 v14, 16, v11
	v_mul_f16_sdwa v9, v36, v13 dst_sel:DWORD dst_unused:UNUSED_PAD src0_sel:WORD_1 src1_sel:DWORD
	v_fma_f16 v13, v36, v13, -v19
	v_mul_f16_sdwa v15, v35, v11 dst_sel:DWORD dst_unused:UNUSED_PAD src0_sel:WORD_1 src1_sel:DWORD
	ds_write_b32 v31, v6 offset:484
	v_pack_b32_f16 v6, v8, v12
	v_fmac_f16_e32 v9, v36, v10
	v_mul_f16_sdwa v8, v35, v14 dst_sel:DWORD dst_unused:UNUSED_PAD src0_sel:WORD_1 src1_sel:DWORD
	v_fma_f16 v10, v35, v14, -v15
	s_waitcnt vmcnt(2)
	v_lshrrev_b32_e32 v12, 16, v2
	v_mul_f16_sdwa v14, v34, v2 dst_sel:DWORD dst_unused:UNUSED_PAD src0_sel:WORD_1 src1_sel:DWORD
	ds_write_b32 v31, v6 offset:968
	v_pack_b32_f16 v6, v9, v13
	v_fmac_f16_e32 v8, v35, v11
	v_mul_f16_sdwa v13, v34, v12 dst_sel:DWORD dst_unused:UNUSED_PAD src0_sel:WORD_1 src1_sel:DWORD
	s_waitcnt vmcnt(1)
	v_lshrrev_b32_e32 v9, 16, v3
	s_waitcnt vmcnt(0)
	v_lshrrev_b32_e32 v11, 16, v4
	v_fma_f16 v12, v34, v12, -v14
	v_mul_f16_sdwa v14, v33, v3 dst_sel:DWORD dst_unused:UNUSED_PAD src0_sel:WORD_1 src1_sel:DWORD
	v_mul_f16_sdwa v20, v32, v4 dst_sel:DWORD dst_unused:UNUSED_PAD src0_sel:WORD_1 src1_sel:DWORD
	v_mul_f16_sdwa v15, v33, v9 dst_sel:DWORD dst_unused:UNUSED_PAD src0_sel:WORD_1 src1_sel:DWORD
	v_mul_f16_sdwa v19, v32, v11 dst_sel:DWORD dst_unused:UNUSED_PAD src0_sel:WORD_1 src1_sel:DWORD
	v_fmac_f16_e32 v13, v34, v2
	v_fma_f16 v2, v33, v9, -v14
	ds_write_b32 v31, v6 offset:1452
	v_fmac_f16_e32 v15, v33, v3
	v_fmac_f16_e32 v19, v32, v4
	v_fma_f16 v3, v32, v11, -v20
	v_pack_b32_f16 v4, v8, v10
	v_pack_b32_f16 v6, v13, v12
	;; [unrolled: 1-line block ×4, first 2 shown]
	ds_write2_b32 v31, v5, v4 offset1:44
	ds_write_b32 v31, v6 offset:660
	ds_write_b32 v31, v2 offset:1144
	;; [unrolled: 1-line block ×3, first 2 shown]
	s_and_saveexec_b32 s2, vcc_lo
	s_cbranch_execz .LBB0_3
; %bb.2:
	v_add_co_u32 v0, s0, v0, s0
	v_add_co_ci_u32_e64 v1, s0, s1, v1, s0
	global_load_dword v5, v[16:17], off offset:352
	global_load_dword v4, v[0:1], off
	v_add_co_u32 v0, s0, v0, s14
	v_add_co_ci_u32_e64 v1, s0, s15, v1, s0
	v_add_co_u32 v2, s0, v0, s14
	v_add_co_ci_u32_e64 v3, s0, s15, v1, s0
	global_load_dword v6, v[0:1], off
	v_add_co_u32 v0, s0, v2, s14
	v_add_co_ci_u32_e64 v1, s0, s15, v3, s0
	global_load_dword v7, v[16:17], off offset:836
	global_load_dword v2, v[2:3], off
	global_load_dword v0, v[0:1], off
	s_clause 0x1
	global_load_dword v1, v[16:17], off offset:1320
	global_load_dword v3, v[16:17], off offset:1804
	s_waitcnt vmcnt(6)
	v_lshrrev_b32_e32 v8, 16, v4
	v_mul_f16_sdwa v9, v5, v4 dst_sel:DWORD dst_unused:UNUSED_PAD src0_sel:WORD_1 src1_sel:DWORD
	v_mul_f16_sdwa v10, v5, v8 dst_sel:DWORD dst_unused:UNUSED_PAD src0_sel:WORD_1 src1_sel:DWORD
	v_fma_f16 v8, v5, v8, -v9
	s_waitcnt vmcnt(5)
	v_lshrrev_b32_e32 v11, 16, v6
	v_fmac_f16_e32 v10, v5, v4
	s_waitcnt vmcnt(4)
	v_mul_f16_sdwa v9, v7, v6 dst_sel:DWORD dst_unused:UNUSED_PAD src0_sel:WORD_1 src1_sel:DWORD
	s_waitcnt vmcnt(3)
	v_lshrrev_b32_e32 v4, 16, v2
	s_waitcnt vmcnt(2)
	v_lshrrev_b32_e32 v12, 16, v0
	v_mul_f16_sdwa v5, v7, v11 dst_sel:DWORD dst_unused:UNUSED_PAD src0_sel:WORD_1 src1_sel:DWORD
	s_waitcnt vmcnt(0)
	v_mul_f16_sdwa v14, v3, v0 dst_sel:DWORD dst_unused:UNUSED_PAD src0_sel:WORD_1 src1_sel:DWORD
	v_fma_f16 v9, v7, v11, -v9
	v_mul_f16_sdwa v11, v1, v2 dst_sel:DWORD dst_unused:UNUSED_PAD src0_sel:WORD_1 src1_sel:DWORD
	v_mul_f16_sdwa v13, v1, v4 dst_sel:DWORD dst_unused:UNUSED_PAD src0_sel:WORD_1 src1_sel:DWORD
	;; [unrolled: 1-line block ×3, first 2 shown]
	v_fmac_f16_e32 v5, v7, v6
	v_fma_f16 v4, v1, v4, -v11
	v_fmac_f16_e32 v13, v1, v2
	v_fma_f16 v1, v3, v12, -v14
	v_fmac_f16_e32 v15, v3, v0
	v_pack_b32_f16 v0, v10, v8
	v_pack_b32_f16 v2, v5, v9
	;; [unrolled: 1-line block ×3, first 2 shown]
	v_add_nc_u32_e32 v4, 0x400, v31
	v_pack_b32_f16 v1, v15, v1
	ds_write2_b32 v31, v0, v2 offset0:88 offset1:209
	ds_write2_b32 v4, v3, v1 offset0:74 offset1:195
.LBB0_3:
	s_or_b32 exec_lo, exec_lo, s2
	v_add_nc_u32_e32 v0, 0x200, v31
	v_add_nc_u32_e32 v7, 0x400, v31
	s_waitcnt lgkmcnt(0)
	s_barrier
	buffer_gl0_inv
	ds_read2_b32 v[2:3], v31 offset1:44
	ds_read2_b32 v[4:5], v31 offset0:121 offset1:165
	ds_read2_b32 v[10:11], v0 offset0:114 offset1:158
	ds_read2_b32 v[8:9], v7 offset0:107 offset1:151
	s_load_dwordx2 s[0:1], s[4:5], 0x8
                                        ; implicit-def: $vgpr0
                                        ; implicit-def: $vgpr6
	s_and_saveexec_b32 s2, vcc_lo
	s_cbranch_execz .LBB0_5
; %bb.4:
	ds_read2_b32 v[0:1], v31 offset0:88 offset1:209
	ds_read2_b32 v[6:7], v7 offset0:74 offset1:195
.LBB0_5:
	s_or_b32 exec_lo, exec_lo, s2
	s_waitcnt lgkmcnt(0)
	v_pk_add_f16 v10, v2, v10 neg_lo:[0,1] neg_hi:[0,1]
	v_pk_add_f16 v11, v3, v11 neg_lo:[0,1] neg_hi:[0,1]
	;; [unrolled: 1-line block ×5, first 2 shown]
	v_lshrrev_b32_e32 v13, 16, v10
	v_lshrrev_b32_e32 v14, 16, v11
	v_sub_f16_sdwa v20, v11, v9 dst_sel:DWORD dst_unused:UNUSED_PAD src0_sel:DWORD src1_sel:WORD_1
	v_sub_f16_sdwa v15, v10, v8 dst_sel:DWORD dst_unused:UNUSED_PAD src0_sel:DWORD src1_sel:WORD_1
	v_pk_add_f16 v6, v0, v6 neg_lo:[0,1] neg_hi:[0,1]
	v_add_f16_e32 v19, v13, v8
	v_alignbit_b32 v22, s0, v7, 16
	v_pk_fma_f16 v2, v2, 2.0, v10 op_sel_hi:[1,0,1] neg_lo:[0,0,1] neg_hi:[0,0,1]
	v_pk_fma_f16 v4, v4, 2.0, v8 op_sel_hi:[1,0,1] neg_lo:[0,0,1] neg_hi:[0,0,1]
	v_add_f16_e32 v21, v14, v9
	v_fma_f16 v24, v11, 2.0, -v20
	v_pk_fma_f16 v11, v3, 2.0, v11 op_sel_hi:[1,0,1] neg_lo:[0,0,1] neg_hi:[0,0,1]
	v_pk_fma_f16 v3, v5, 2.0, v9 op_sel_hi:[1,0,1] neg_lo:[0,0,1] neg_hi:[0,0,1]
	v_add_co_u32 v12, null, 0x58, v37
	v_fma_f16 v23, v10, 2.0, -v15
	v_fma_f16 v13, v13, 2.0, -v19
	v_pk_add_f16 v44, v6, v22 neg_lo:[0,1] neg_hi:[0,1]
	v_alignbit_b32 v22, s0, v6, 16
	v_lshlrev_b16 v8, 2, v37
	v_mov_b32_e32 v5, 2
	v_pk_add_f16 v4, v2, v4 neg_lo:[0,1] neg_hi:[0,1]
	v_fma_f16 v14, v14, 2.0, -v21
	v_pk_add_f16 v10, v11, v3 neg_lo:[0,1] neg_hi:[0,1]
	v_lshlrev_b32_e32 v43, 4, v37
	v_pk_add_f16 v45, v7, v22
	v_lshlrev_b32_sdwa v42, v5, v8 dst_sel:DWORD dst_unused:UNUSED_PAD src0_sel:DWORD src1_sel:WORD_0
	v_pk_fma_f16 v2, v2, 2.0, v4 op_sel_hi:[1,0,1] neg_lo:[0,0,1] neg_hi:[0,0,1]
	v_pack_b32_f16 v5, v15, v19
	v_pack_b32_f16 v3, v23, v13
	v_lshlrev_b32_e32 v41, 4, v12
	v_pk_fma_f16 v8, v11, 2.0, v10 op_sel_hi:[1,0,1] neg_lo:[0,0,1] neg_hi:[0,0,1]
	v_pack_b32_f16 v11, v20, v21
	v_pack_b32_f16 v9, v24, v14
	s_barrier
	buffer_gl0_inv
	ds_write_b128 v42, v[2:5]
	ds_write_b128 v43, v[8:11] offset:704
	s_and_saveexec_b32 s2, vcc_lo
	s_cbranch_execz .LBB0_7
; %bb.6:
	v_pk_fma_f16 v0, v0, 2.0, v6 op_sel_hi:[1,0,1] neg_lo:[0,0,1] neg_hi:[0,0,1]
	v_pk_fma_f16 v1, v1, 2.0, v7 op_sel_hi:[1,0,1] neg_lo:[0,0,1] neg_hi:[0,0,1]
	v_lshrrev_b32_e32 v3, 16, v6
	v_fma_f16 v4, v6, 2.0, -v44
	v_pk_add_f16 v2, v0, v1 neg_lo:[0,1] neg_hi:[0,1]
	v_fma_f16 v1, v3, 2.0, -v45
	v_perm_b32 v3, v45, v44, 0x5040100
	v_pk_fma_f16 v0, v0, 2.0, v2 op_sel_hi:[1,0,1] neg_lo:[0,0,1] neg_hi:[0,0,1]
	v_pack_b32_f16 v1, v4, v1
	ds_write_b128 v41, v[0:3]
.LBB0_7:
	s_or_b32 exec_lo, exec_lo, s2
	v_and_b32_e32 v23, 3, v37
	s_waitcnt lgkmcnt(0)
	s_barrier
	buffer_gl0_inv
	v_add_nc_u32_e32 v29, 0x400, v31
	v_mul_u32_u24_e32 v0, 10, v23
	v_lshrrev_b32_e32 v24, 2, v37
	v_lshlrev_b32_e32 v8, 2, v0
	v_mul_u32_u24_e32 v24, 44, v24
	s_clause 0x2
	global_load_dwordx4 v[4:7], v8, s[0:1]
	global_load_dwordx4 v[0:3], v8, s[0:1] offset:16
	global_load_dwordx2 v[19:20], v8, s[0:1] offset:32
	ds_read2_b32 v[8:9], v31 offset1:44
	ds_read2_b32 v[12:13], v31 offset0:88 offset1:132
	ds_read2_b32 v[10:11], v31 offset0:176 offset1:220
	ds_read_b32 v25, v31 offset:1760
	ds_read2_b32 v[14:15], v29 offset0:8 offset1:52
	ds_read2_b32 v[21:22], v29 offset0:96 offset1:140
	v_or_b32_e32 v26, v24, v23
	v_mad_u64_u32 v[23:24], null, v37, 40, s[0:1]
	s_waitcnt vmcnt(0) lgkmcnt(0)
	s_barrier
	v_lshlrev_b32_e32 v46, 2, v26
	buffer_gl0_inv
	s_add_u32 s0, s16, 0x790
	s_addc_u32 s1, s17, 0
	v_lshrrev_b32_e32 v26, 16, v9
	v_lshrrev_b32_e32 v27, 16, v12
	;; [unrolled: 1-line block ×10, first 2 shown]
	v_mul_f16_sdwa v53, v26, v4 dst_sel:DWORD dst_unused:UNUSED_PAD src0_sel:DWORD src1_sel:WORD_1
	v_mul_f16_sdwa v54, v9, v4 dst_sel:DWORD dst_unused:UNUSED_PAD src0_sel:DWORD src1_sel:WORD_1
	v_mul_f16_sdwa v55, v27, v5 dst_sel:DWORD dst_unused:UNUSED_PAD src0_sel:DWORD src1_sel:WORD_1
	v_mul_f16_sdwa v56, v12, v5 dst_sel:DWORD dst_unused:UNUSED_PAD src0_sel:DWORD src1_sel:WORD_1
	v_mul_f16_sdwa v69, v52, v19 dst_sel:DWORD dst_unused:UNUSED_PAD src0_sel:DWORD src1_sel:WORD_1
	v_fma_f16 v9, v9, v4, -v53
	v_fmac_f16_e32 v54, v26, v4
	v_mul_f16_sdwa v71, v48, v20 dst_sel:DWORD dst_unused:UNUSED_PAD src0_sel:DWORD src1_sel:WORD_1
	v_mul_f16_sdwa v72, v25, v20 dst_sel:DWORD dst_unused:UNUSED_PAD src0_sel:DWORD src1_sel:WORD_1
	;; [unrolled: 1-line block ×8, first 2 shown]
	v_fma_f16 v12, v12, v5, -v55
	v_fmac_f16_e32 v56, v27, v5
	v_fma_f16 v22, v22, v19, -v69
	v_add_f16_e32 v26, v8, v9
	v_add_f16_sdwa v27, v8, v54 dst_sel:DWORD dst_unused:UNUSED_PAD src0_sel:WORD_1 src1_sel:DWORD
	v_mul_f16_sdwa v59, v30, v7 dst_sel:DWORD dst_unused:UNUSED_PAD src0_sel:DWORD src1_sel:WORD_1
	v_mul_f16_sdwa v60, v10, v7 dst_sel:DWORD dst_unused:UNUSED_PAD src0_sel:DWORD src1_sel:WORD_1
	;; [unrolled: 1-line block ×7, first 2 shown]
	v_fmac_f16_e32 v72, v48, v20
	v_fma_f16 v25, v25, v20, -v71
	v_fma_f16 v13, v13, v6, -v57
	v_fmac_f16_e32 v58, v28, v6
	v_fmac_f16_e32 v64, v49, v1
	;; [unrolled: 1-line block ×3, first 2 shown]
	v_fma_f16 v21, v21, v3, -v67
	v_add_f16_e32 v49, v12, v22
	v_sub_f16_e32 v50, v12, v22
	v_add_f16_e32 v12, v26, v12
	v_add_f16_e32 v26, v27, v56
	v_fma_f16 v10, v10, v7, -v59
	v_fmac_f16_e32 v60, v30, v7
	v_fma_f16 v11, v11, v0, -v61
	v_fmac_f16_e32 v62, v47, v0
	v_fma_f16 v14, v14, v1, -v63
	v_fma_f16 v15, v15, v2, -v65
	v_fmac_f16_e32 v68, v51, v3
	v_fmac_f16_e32 v70, v52, v19
	v_sub_f16_e32 v28, v54, v72
	v_sub_f16_e32 v30, v9, v25
	v_add_f16_e32 v47, v54, v72
	v_add_f16_e32 v53, v13, v21
	v_sub_f16_e32 v54, v13, v21
	v_add_f16_e32 v12, v12, v13
	v_add_f16_e32 v13, v26, v58
	;; [unrolled: 1-line block ×3, first 2 shown]
	v_sub_f16_e32 v48, v56, v70
	v_sub_f16_e32 v52, v58, v68
	;; [unrolled: 1-line block ×6, first 2 shown]
	v_mul_f16_e32 v73, 0xb853, v28
	v_mul_f16_e32 v74, 0xb853, v30
	;; [unrolled: 1-line block ×10, first 2 shown]
	v_add_f16_e32 v59, v10, v15
	v_add_f16_e32 v10, v12, v10
	;; [unrolled: 1-line block ×8, first 2 shown]
	v_mul_f16_e32 v81, 0xbb47, v48
	v_mul_f16_e32 v82, 0xba0c, v48
	;; [unrolled: 1-line block ×40, first 2 shown]
	v_fma_f16 v111, v9, 0x3abb, -v73
	v_fmamk_f16 v112, v47, 0x3abb, v74
	v_fmac_f16_e32 v73, 0x3abb, v9
	v_fma_f16 v74, v47, 0x3abb, -v74
	v_fma_f16 v113, v9, 0x36a6, -v75
	v_fmamk_f16 v114, v47, 0x36a6, v76
	v_fmac_f16_e32 v75, 0x36a6, v9
	v_fma_f16 v76, v47, 0x36a6, -v76
	;; [unrolled: 4-line block ×4, first 2 shown]
	v_fma_f16 v119, v9, 0xbbad, -v28
	v_fmac_f16_e32 v28, 0xbbad, v9
	v_fmamk_f16 v9, v47, 0xbbad, v30
	v_fma_f16 v30, v47, 0xbbad, -v30
	v_add_f16_e32 v10, v10, v11
	v_add_f16_e32 v11, v12, v62
	v_fma_f16 v47, v49, 0x36a6, -v81
	v_fmac_f16_e32 v81, 0x36a6, v49
	v_fma_f16 v120, v49, 0xb93d, -v82
	v_fmac_f16_e32 v82, 0xb93d, v49
	v_fma_f16 v121, v49, 0xbbad, -v83
	v_fmac_f16_e32 v83, 0xbbad, v49
	v_fma_f16 v122, v49, 0xb08e, -v84
	v_fmac_f16_e32 v84, 0xb08e, v49
	v_fma_f16 v123, v49, 0x3abb, -v48
	v_fmac_f16_e32 v48, 0x3abb, v49
	v_fmamk_f16 v49, v51, 0x36a6, v27
	v_fma_f16 v27, v51, 0x36a6, -v27
	v_fmamk_f16 v124, v51, 0xb93d, v56
	v_fma_f16 v56, v51, 0xb93d, -v56
	v_fmamk_f16 v125, v51, 0xbbad, v85
	v_fma_f16 v85, v51, 0xbbad, -v85
	v_fmamk_f16 v126, v51, 0xb08e, v86
	v_fma_f16 v86, v51, 0xb08e, -v86
	v_fmamk_f16 v127, v51, 0x3abb, v50
	v_fma_f16 v50, v51, 0x3abb, -v50
	v_fma_f16 v51, v53, 0xb08e, -v87
	v_fmac_f16_e32 v87, 0xb08e, v53
	v_fma_f16 v128, v53, 0xbbad, -v88
	v_fmac_f16_e32 v88, 0xbbad, v53
	v_fma_f16 v129, v53, 0x36a6, -v89
	v_fmac_f16_e32 v89, 0x36a6, v53
	v_fma_f16 v130, v53, 0x3abb, -v90
	v_fmac_f16_e32 v90, 0x3abb, v53
	v_fma_f16 v131, v53, 0xb93d, -v52
	v_fmac_f16_e32 v52, 0xb93d, v53
	v_fmamk_f16 v26, v55, 0xb08e, v91
	v_fma_f16 v53, v55, 0xb08e, -v91
	v_fmamk_f16 v58, v55, 0xbbad, v92
	v_fma_f16 v91, v55, 0xbbad, -v92
	v_fmamk_f16 v92, v55, 0x36a6, v93
	v_fma_f16 v93, v55, 0x36a6, -v93
	v_fmamk_f16 v132, v55, 0x3abb, v94
	v_fma_f16 v94, v55, 0x3abb, -v94
	v_fmamk_f16 v133, v55, 0xb93d, v54
	v_fma_f16 v54, v55, 0xb93d, -v54
	;; [unrolled: 20-line block ×4, first 2 shown]
	v_add_f16_e32 v71, v8, v111
	v_add_f16_sdwa v111, v8, v112 dst_sel:DWORD dst_unused:UNUSED_PAD src0_sel:WORD_1 src1_sel:DWORD
	v_add_f16_e32 v73, v8, v73
	v_add_f16_sdwa v74, v8, v74 dst_sel:DWORD dst_unused:UNUSED_PAD src0_sel:WORD_1 src1_sel:DWORD
	;; [unrolled: 2-line block ×10, first 2 shown]
	v_add_f16_e32 v10, v10, v14
	v_add_f16_e32 v11, v11, v64
	v_add_f16_e32 v12, v47, v71
	v_add_f16_e32 v28, v49, v111
	v_add_f16_e32 v30, v81, v73
	v_add_f16_e32 v27, v27, v74
	v_add_f16_e32 v47, v120, v112
	v_add_f16_e32 v49, v124, v113
	v_add_f16_e32 v60, v82, v75
	v_add_f16_e32 v56, v56, v76
	v_add_f16_e32 v62, v121, v114
	v_add_f16_e32 v71, v125, v115
	v_add_f16_e32 v73, v83, v77
	v_add_f16_e32 v74, v85, v78
	v_add_f16_e32 v75, v122, v116
	v_add_f16_e32 v76, v126, v117
	v_add_f16_e32 v77, v84, v79
	v_add_f16_e32 v78, v86, v80
	v_add_f16_e32 v79, v123, v118
	v_add_f16_e32 v9, v127, v9
	v_add_f16_e32 v13, v48, v13
	v_add_f16_e32 v8, v50, v8
	v_add_f16_e32 v10, v10, v15
	v_add_f16_e32 v11, v11, v66
	v_add_f16_e32 v12, v51, v12
	v_add_f16_e32 v14, v26, v28
	v_add_f16_e32 v26, v87, v30
	v_add_f16_e32 v27, v53, v27
	v_add_f16_e32 v28, v128, v47
	v_add_f16_e32 v30, v58, v49
	v_add_f16_e32 v47, v88, v60
	v_add_f16_e32 v48, v91, v56
	v_add_f16_e32 v49, v129, v62
	v_add_f16_e32 v50, v92, v71
	v_add_f16_e32 v51, v89, v73
	v_add_f16_e32 v53, v93, v74
	v_add_f16_e32 v56, v130, v75
	v_add_f16_e32 v58, v132, v76
	v_add_f16_e32 v60, v90, v77
	v_add_f16_e32 v62, v94, v78
	v_add_f16_e32 v64, v131, v79
	v_add_f16_e32 v9, v133, v9
	v_add_f16_e32 v13, v52, v13
	v_add_f16_e32 v8, v54, v8
	v_add_f16_e32 v10, v10, v21
	v_add_f16_e32 v11, v11, v68
	v_add_f16_e32 v12, v55, v12
	v_add_f16_e32 v14, v59, v14
	v_add_f16_e32 v15, v95, v26
	v_add_f16_e32 v26, v99, v27
	v_add_f16_e32 v27, v134, v28
	v_add_f16_e32 v28, v138, v30
	v_add_f16_e32 v30, v96, v47
	v_add_f16_e32 v47, v100, v48
	v_add_f16_e32 v48, v135, v49
	v_add_f16_e32 v49, v139, v50
	v_add_f16_e32 v50, v97, v51
	v_add_f16_e32 v51, v101, v53
	v_add_f16_e32 v52, v136, v56
	v_add_f16_e32 v53, v140, v58
	v_add_f16_e32 v54, v98, v60
	v_add_f16_e32 v55, v102, v62
	v_add_f16_e32 v56, v137, v64
	v_add_f16_e32 v9, v141, v9
	v_add_f16_e32 v13, v57, v13
	v_add_f16_e32 v8, v61, v8
	v_add_f16_e32 v10, v10, v22
	v_add_f16_e32 v11, v11, v70
	v_add_f16_e32 v12, v63, v12
	v_add_f16_e32 v14, v67, v14
	v_add_f16_e32 v21, v107, v26
	v_add_f16_e32 v26, v142, v27
	v_add_f16_e32 v27, v146, v28
	v_add_f16_e32 v28, v104, v30
	v_add_f16_e32 v30, v108, v47
	v_add_f16_e32 v47, v143, v48
	v_add_f16_e32 v48, v147, v49
	v_add_f16_e32 v49, v105, v50
	v_add_f16_e32 v50, v109, v51
	v_add_f16_e32 v51, v144, v52
	v_add_f16_e32 v52, v148, v53
	v_add_f16_e32 v53, v106, v54
	v_add_f16_e32 v54, v110, v55
	v_add_f16_e32 v55, v145, v56
	v_add_f16_e32 v9, v149, v9
	v_add_f16_e32 v13, v65, v13
	v_add_f16_e32 v8, v69, v8
	v_add_f16_e32 v15, v103, v15
	v_add_f16_e32 v10, v10, v25
	v_add_f16_e32 v11, v11, v72
	v_pack_b32_f16 v12, v12, v14
	v_pack_b32_f16 v14, v26, v27
	;; [unrolled: 1-line block ×11, first 2 shown]
	ds_write2_b32 v46, v14, v22 offset0:8 offset1:12
	ds_write2_b32 v46, v26, v9 offset0:16 offset1:20
	;; [unrolled: 1-line block ×4, first 2 shown]
	ds_write_b32 v46, v15 offset:160
	ds_write2_b32 v46, v10, v12 offset1:4
	s_waitcnt lgkmcnt(0)
	s_barrier
	buffer_gl0_inv
	s_clause 0x2
	global_load_dwordx4 v[12:15], v[23:24], off offset:160
	global_load_dwordx2 v[21:22], v[23:24], off offset:192
	global_load_dwordx4 v[8:11], v[23:24], off offset:176
	ds_read2_b32 v[23:24], v31 offset1:44
	ds_read2_b32 v[25:26], v31 offset0:88 offset1:132
	ds_read2_b32 v[27:28], v31 offset0:176 offset1:220
	ds_read_b32 v30, v31 offset:1760
	ds_read2_b32 v[47:48], v29 offset0:8 offset1:52
	ds_read2_b32 v[49:50], v29 offset0:96 offset1:140
	s_waitcnt lgkmcnt(5)
	v_lshrrev_b32_e32 v51, 16, v24
	s_waitcnt lgkmcnt(4)
	v_lshrrev_b32_e32 v52, 16, v25
	v_lshrrev_b32_e32 v53, 16, v26
	s_waitcnt lgkmcnt(3)
	v_lshrrev_b32_e32 v54, 16, v27
	s_waitcnt lgkmcnt(2)
	;; [unrolled: 2-line block ×3, first 2 shown]
	v_lshrrev_b32_e32 v60, 16, v50
	v_lshrrev_b32_e32 v59, 16, v49
	;; [unrolled: 1-line block ×5, first 2 shown]
	s_waitcnt vmcnt(2)
	v_mul_f16_sdwa v61, v51, v12 dst_sel:DWORD dst_unused:UNUSED_PAD src0_sel:DWORD src1_sel:WORD_1
	v_mul_f16_sdwa v62, v24, v12 dst_sel:DWORD dst_unused:UNUSED_PAD src0_sel:DWORD src1_sel:WORD_1
	;; [unrolled: 1-line block ×5, first 2 shown]
	s_waitcnt vmcnt(1)
	v_mul_f16_sdwa v78, v60, v21 dst_sel:DWORD dst_unused:UNUSED_PAD src0_sel:DWORD src1_sel:WORD_1
	v_fma_f16 v24, v24, v12, -v61
	v_fmac_f16_e32 v62, v51, v12
	v_mul_f16_sdwa v65, v53, v14 dst_sel:DWORD dst_unused:UNUSED_PAD src0_sel:DWORD src1_sel:WORD_1
	v_mul_f16_sdwa v66, v30, v22 dst_sel:DWORD dst_unused:UNUSED_PAD src0_sel:DWORD src1_sel:WORD_1
	;; [unrolled: 1-line block ×5, first 2 shown]
	s_waitcnt vmcnt(0)
	v_mul_f16_sdwa v75, v47, v9 dst_sel:DWORD dst_unused:UNUSED_PAD src0_sel:DWORD src1_sel:WORD_1
	v_mul_f16_sdwa v76, v48, v10 dst_sel:DWORD dst_unused:UNUSED_PAD src0_sel:DWORD src1_sel:WORD_1
	;; [unrolled: 1-line block ×4, first 2 shown]
	v_fma_f16 v25, v25, v13, -v63
	v_fma_f16 v51, v50, v21, -v78
	v_fmac_f16_e32 v64, v52, v13
	v_fmac_f16_e32 v71, v54, v15
	v_add_f16_e32 v50, v23, v24
	v_add_f16_sdwa v54, v23, v62 dst_sel:DWORD dst_unused:UNUSED_PAD src0_sel:WORD_1 src1_sel:DWORD
	v_mul_f16_sdwa v70, v55, v8 dst_sel:DWORD dst_unused:UNUSED_PAD src0_sel:DWORD src1_sel:WORD_1
	v_mul_f16_sdwa v72, v28, v8 dst_sel:DWORD dst_unused:UNUSED_PAD src0_sel:DWORD src1_sel:WORD_1
	v_mul_f16_sdwa v73, v57, v9 dst_sel:DWORD dst_unused:UNUSED_PAD src0_sel:DWORD src1_sel:WORD_1
	v_mul_f16_sdwa v74, v58, v10 dst_sel:DWORD dst_unused:UNUSED_PAD src0_sel:DWORD src1_sel:WORD_1
	v_mul_f16_sdwa v80, v49, v11 dst_sel:DWORD dst_unused:UNUSED_PAD src0_sel:DWORD src1_sel:WORD_1
	v_fmac_f16_e32 v66, v56, v22
	v_fma_f16 v30, v30, v22, -v67
	v_fma_f16 v26, v26, v14, -v65
	;; [unrolled: 1-line block ×3, first 2 shown]
	v_fmac_f16_e32 v68, v53, v14
	v_fmac_f16_e32 v75, v57, v9
	;; [unrolled: 1-line block ×3, first 2 shown]
	v_add_f16_e32 v57, v25, v51
	v_sub_f16_e32 v58, v25, v51
	v_add_f16_e32 v25, v50, v25
	v_add_f16_e32 v50, v54, v64
	v_fma_f16 v27, v27, v15, -v69
	v_fma_f16 v28, v28, v8, -v70
	;; [unrolled: 1-line block ×4, first 2 shown]
	v_fmac_f16_e32 v79, v60, v21
	v_fmac_f16_e32 v72, v55, v8
	;; [unrolled: 1-line block ×3, first 2 shown]
	v_sub_f16_e32 v52, v62, v66
	v_sub_f16_e32 v53, v24, v30
	v_add_f16_e32 v55, v62, v66
	v_add_f16_e32 v61, v26, v49
	v_sub_f16_e32 v62, v26, v49
	v_add_f16_e32 v25, v25, v26
	v_add_f16_e32 v26, v50, v68
	;; [unrolled: 1-line block ×3, first 2 shown]
	v_sub_f16_e32 v56, v64, v79
	v_sub_f16_e32 v60, v68, v80
	;; [unrolled: 1-line block ×6, first 2 shown]
	v_mul_f16_e32 v81, 0xb853, v52
	v_mul_f16_e32 v82, 0xb853, v53
	v_add_f16_e32 v25, v25, v27
	v_add_f16_e32 v26, v26, v71
	v_mul_f16_e32 v83, 0xba0c, v52
	v_mul_f16_e32 v84, 0xba0c, v53
	;; [unrolled: 1-line block ×4, first 2 shown]
	v_pk_mul_f16 v52, 0xbb47bbeb, v52 op_sel_hi:[1,0]
	v_pk_mul_f16 v53, 0xbbebbb47, v53 op_sel_hi:[1,0]
	v_add_f16_e32 v59, v64, v79
	v_add_f16_e32 v63, v68, v80
	;; [unrolled: 1-line block ×6, first 2 shown]
	v_mul_f16_e32 v87, 0xbb47, v56
	v_mul_f16_e32 v88, 0x3beb, v56
	v_mul_f16_e32 v89, 0x3853, v56
	v_pk_mul_f16 v56, 0xba0c3482, v56 op_sel_hi:[1,0]
	v_mul_f16_e32 v54, 0xbb47, v58
	v_mul_f16_e32 v64, 0x3beb, v58
	v_mul_f16_e32 v90, 0x3853, v58
	v_pk_mul_f16 v58, 0x3482ba0c, v58 op_sel_hi:[1,0]
	;; [unrolled: 4-line block ×6, first 2 shown]
	v_mul_f16_e32 v103, 0xb482, v73
	v_pk_mul_f16 v104, 0x3853ba0c, v73 op_sel_hi:[1,0]
	v_mul_f16_e32 v105, 0x3b47, v73
	v_mul_f16_e32 v73, 0xbbeb, v73
	;; [unrolled: 1-line block ×3, first 2 shown]
	v_pk_mul_f16 v107, 0xba0c3853, v77 op_sel_hi:[1,0]
	v_mul_f16_e32 v108, 0x3b47, v77
	v_mul_f16_e32 v77, 0xbbeb, v77
	v_fma_f16 v109, v24, 0x3abb, -v81
	v_fmamk_f16 v110, v55, 0x3abb, v82
	v_add_f16_e32 v25, v25, v28
	v_add_f16_e32 v26, v26, v72
	v_fmac_f16_e32 v81, 0x3abb, v24
	v_fma_f16 v82, v55, 0x3abb, -v82
	v_fma_f16 v111, v24, 0xb93d, -v83
	v_fmamk_f16 v112, v55, 0xb93d, v84
	v_fmac_f16_e32 v83, 0xb93d, v24
	v_fma_f16 v84, v55, 0xb93d, -v84
	v_fma_f16 v113, v24, 0xbbad, -v85
	v_fmamk_f16 v114, v55, 0xbbad, v86
	v_fmac_f16_e32 v85, 0xbbad, v24
	v_fma_f16 v86, v55, 0xbbad, -v86
	v_pk_fma_f16 v115, 0x36a6b08e, v24, v52 op_sel_hi:[1,0,1] neg_lo:[0,0,1] neg_hi:[0,0,1]
	v_pk_fma_f16 v116, 0xb08e36a6, v55, v53 op_sel_hi:[1,0,1]
	v_pk_fma_f16 v24, 0x36a6b08e, v24, v52 op_sel_hi:[1,0,1]
	v_pk_fma_f16 v52, 0xb08e36a6, v55, v53 op_sel_hi:[1,0,1] neg_lo:[0,0,1] neg_hi:[0,0,1]
	v_fma_f16 v53, v57, 0x36a6, -v87
	v_fmac_f16_e32 v87, 0x36a6, v57
	v_fma_f16 v55, v57, 0xb08e, -v88
	v_fmac_f16_e32 v88, 0xb08e, v57
	v_fma_f16 v117, v57, 0x3abb, -v89
	v_fmac_f16_e32 v89, 0x3abb, v57
	v_pk_fma_f16 v118, 0xb93dbbad, v57, v56 op_sel_hi:[1,0,1] neg_lo:[0,0,1] neg_hi:[0,0,1]
	v_pk_fma_f16 v56, 0xb93dbbad, v57, v56 op_sel_hi:[1,0,1]
	v_fmamk_f16 v57, v59, 0x36a6, v54
	v_fma_f16 v54, v59, 0x36a6, -v54
	v_fmamk_f16 v119, v59, 0xb08e, v64
	v_fma_f16 v64, v59, 0xb08e, -v64
	v_fmamk_f16 v120, v59, 0x3abb, v90
	v_fma_f16 v90, v59, 0x3abb, -v90
	v_pk_fma_f16 v121, 0xbbadb93d, v59, v58 op_sel_hi:[1,0,1]
	v_pk_fma_f16 v58, 0xbbadb93d, v59, v58 op_sel_hi:[1,0,1] neg_lo:[0,0,1] neg_hi:[0,0,1]
	v_fma_f16 v59, v61, 0xb08e, -v91
	v_fmac_f16_e32 v91, 0xb08e, v61
	v_fma_f16 v122, v61, 0x3abb, -v92
	v_fmac_f16_e32 v92, 0x3abb, v61
	v_fma_f16 v123, v61, 0xb93d, -v93
	v_fmac_f16_e32 v93, 0xb93d, v61
	v_pk_fma_f16 v124, 0xbbad36a6, v61, v60 op_sel_hi:[1,0,1] neg_lo:[0,0,1] neg_hi:[0,0,1]
	v_pk_fma_f16 v60, 0xbbad36a6, v61, v60 op_sel_hi:[1,0,1]
	v_fmamk_f16 v50, v63, 0xb08e, v94
	v_fma_f16 v61, v63, 0xb08e, -v94
	v_fmamk_f16 v68, v63, 0x3abb, v95
	v_fma_f16 v94, v63, 0x3abb, -v95
	v_fmamk_f16 v95, v63, 0xb93d, v96
	v_fma_f16 v96, v63, 0xb93d, -v96
	;; [unrolled: 16-line block ×3, first 2 shown]
	v_pk_fma_f16 v131, 0x3abbb08e, v70, v69 op_sel_hi:[1,0,1]
	v_pk_fma_f16 v69, 0x3abbb08e, v70, v69 op_sel_hi:[1,0,1] neg_lo:[0,0,1] neg_hi:[0,0,1]
	v_fma_f16 v70, v74, 0xbbad, -v103
	v_fmac_f16_e32 v103, 0xbbad, v74
	v_pk_fma_f16 v132, 0x3abbb93d, v74, v104 op_sel_hi:[1,0,1] neg_lo:[0,0,1] neg_hi:[0,0,1]
	v_pk_fma_f16 v104, 0x3abbb93d, v74, v104 op_sel_hi:[1,0,1]
	v_fma_f16 v133, v74, 0x36a6, -v105
	v_fmac_f16_e32 v105, 0x36a6, v74
	v_fma_f16 v134, v74, 0xb08e, -v73
	v_fmac_f16_e32 v73, 0xb08e, v74
	v_fmamk_f16 v74, v78, 0xbbad, v106
	v_fma_f16 v106, v78, 0xbbad, -v106
	v_pk_fma_f16 v135, 0xb93d3abb, v78, v107 op_sel_hi:[1,0,1]
	v_pk_fma_f16 v107, 0xb93d3abb, v78, v107 op_sel_hi:[1,0,1] neg_lo:[0,0,1] neg_hi:[0,0,1]
	v_fmamk_f16 v136, v78, 0x36a6, v108
	v_fma_f16 v108, v78, 0x36a6, -v108
	v_fmamk_f16 v137, v78, 0xb08e, v77
	v_fma_f16 v77, v78, 0xb08e, -v77
	v_add_f16_e32 v78, v23, v109
	v_add_f16_sdwa v109, v23, v110 dst_sel:DWORD dst_unused:UNUSED_PAD src0_sel:WORD_1 src1_sel:DWORD
	v_add_f16_e32 v25, v25, v47
	v_add_f16_e32 v26, v26, v75
	;; [unrolled: 1-line block ×3, first 2 shown]
	v_add_f16_sdwa v82, v23, v82 dst_sel:DWORD dst_unused:UNUSED_PAD src0_sel:WORD_1 src1_sel:DWORD
	v_add_f16_e32 v110, v23, v111
	v_add_f16_sdwa v111, v23, v112 dst_sel:DWORD dst_unused:UNUSED_PAD src0_sel:WORD_1 src1_sel:DWORD
	v_add_f16_e32 v83, v23, v83
	;; [unrolled: 2-line block ×4, first 2 shown]
	v_add_f16_sdwa v86, v23, v86 dst_sel:DWORD dst_unused:UNUSED_PAD src0_sel:WORD_1 src1_sel:DWORD
	v_add_f16_sdwa v114, v23, v115 dst_sel:DWORD dst_unused:UNUSED_PAD src0_sel:DWORD src1_sel:WORD_1
	v_add_f16_sdwa v138, v23, v116 dst_sel:DWORD dst_unused:UNUSED_PAD src0_sel:WORD_1 src1_sel:DWORD
	v_add_f16_e32 v115, v23, v115
	v_add_f16_sdwa v27, v23, v116 dst_sel:DWORD dst_unused:UNUSED_PAD src0_sel:WORD_1 src1_sel:WORD_1
	v_pk_add_f16 v24, v23, v24 op_sel_hi:[0,1]
	v_pk_add_f16 v23, v23, v52 op_sel:[1,0]
	v_add_f16_e32 v28, v53, v78
	v_add_f16_e32 v52, v57, v109
	v_add_f16_e32 v25, v25, v48
	v_add_f16_e32 v26, v26, v76
	v_add_f16_e32 v53, v87, v81
	v_add_f16_e32 v54, v54, v82
	v_add_f16_e32 v55, v55, v110
	v_add_f16_e32 v57, v119, v111
	v_add_f16_e32 v71, v88, v83
	v_add_f16_e32 v64, v64, v84
	v_add_f16_e32 v72, v117, v112
	v_add_f16_e32 v78, v120, v113
	v_add_f16_e32 v81, v89, v85
	v_add_f16_e32 v82, v90, v86
	v_add_f16_sdwa v83, v118, v114 dst_sel:DWORD dst_unused:UNUSED_PAD src0_sel:WORD_1 src1_sel:DWORD
	v_add_f16_e32 v84, v118, v115
	v_add_f16_e32 v85, v121, v138
	v_add_f16_sdwa v27, v121, v27 dst_sel:DWORD dst_unused:UNUSED_PAD src0_sel:WORD_1 src1_sel:DWORD
	v_pk_add_f16 v24, v56, v24
	v_pk_add_f16 v23, v58, v23
	v_add_f16_e32 v28, v59, v28
	v_add_f16_e32 v47, v50, v52
	v_add_f16_e32 v25, v25, v49
	v_add_f16_e32 v26, v26, v80
	v_add_f16_e32 v50, v91, v53
	v_add_f16_e32 v52, v61, v54
	v_add_f16_e32 v53, v122, v55
	v_add_f16_e32 v54, v68, v57
	v_add_f16_e32 v55, v92, v71
	v_add_f16_e32 v56, v94, v64
	v_add_f16_e32 v57, v123, v72
	v_add_f16_e32 v58, v95, v78
	v_add_f16_e32 v59, v93, v81
	v_add_f16_e32 v61, v96, v82
	v_add_f16_sdwa v64, v124, v83 dst_sel:DWORD dst_unused:UNUSED_PAD src0_sel:WORD_1 src1_sel:DWORD
	v_add_f16_e32 v68, v124, v84
	v_add_f16_e32 v71, v125, v85
	v_add_f16_sdwa v27, v125, v27 dst_sel:DWORD dst_unused:UNUSED_PAD src0_sel:WORD_1 src1_sel:DWORD
	v_pk_add_f16 v24, v60, v24
	v_pk_add_f16 v23, v62, v23
	;; [unrolled: 20-line block ×3, first 2 shown]
	v_add_f16_e32 v28, v70, v28
	v_add_f16_e32 v63, v74, v47
	v_add_f16_e32 v25, v25, v30
	v_add_f16_e32 v26, v26, v66
	v_add_f16_sdwa v60, v132, v60 dst_sel:DWORD dst_unused:UNUSED_PAD src0_sel:WORD_1 src1_sel:DWORD
	v_add_f16_e32 v61, v132, v61
	v_add_f16_e32 v62, v135, v62
	v_add_f16_sdwa v27, v135, v27 dst_sel:DWORD dst_unused:UNUSED_PAD src0_sel:WORD_1 src1_sel:DWORD
	v_add_f16_e32 v49, v103, v48
	v_pk_add_f16 v48, v104, v24
	v_pk_add_f16 v47, v107, v23
	v_add_f16_e32 v23, v133, v52
	v_add_f16_e32 v24, v136, v53
	;; [unrolled: 1-line block ×9, first 2 shown]
	v_pack_b32_f16 v28, v28, v63
	v_pack_b32_f16 v25, v25, v26
	;; [unrolled: 1-line block ×8, first 2 shown]
	v_bfi_b32 v51, 0xffff, v48, v47
	v_alignbit_b32 v52, v47, v48, 16
	v_pack_b32_f16 v53, v49, v50
	ds_write2_b32 v31, v25, v28 offset1:44
	ds_write2_b32 v31, v57, v27 offset0:88 offset1:132
	ds_write2_b32 v31, v23, v24 offset0:176 offset1:220
	;; [unrolled: 1-line block ×4, first 2 shown]
	ds_write_b32 v31, v53 offset:1760
	s_waitcnt lgkmcnt(0)
	s_barrier
	buffer_gl0_inv
	s_clause 0x7
	global_load_dword v25, v[16:17], off offset:1936
	global_load_dword v28, v31, s[0:1] offset:176
	global_load_dword v30, v31, s[0:1] offset:484
	;; [unrolled: 1-line block ×7, first 2 shown]
	ds_read2_b32 v[23:24], v31 offset1:44
	s_waitcnt lgkmcnt(0)
	v_lshrrev_b32_e32 v26, 16, v23
	s_waitcnt vmcnt(6)
	v_mul_f16_sdwa v61, v24, v28 dst_sel:DWORD dst_unused:UNUSED_PAD src0_sel:DWORD src1_sel:WORD_1
	v_mul_f16_sdwa v27, v26, v25 dst_sel:DWORD dst_unused:UNUSED_PAD src0_sel:DWORD src1_sel:WORD_1
	;; [unrolled: 1-line block ×3, first 2 shown]
	v_fma_f16 v23, v23, v25, -v27
	v_fmac_f16_e32 v51, v26, v25
	v_add_nc_u32_e32 v27, 0x200, v31
	v_pack_b32_f16 v23, v23, v51
	ds_write_b32 v31, v23
	ds_read2_b32 v[25:26], v31 offset0:121 offset1:165
	ds_read2_b32 v[51:52], v27 offset0:114 offset1:158
	;; [unrolled: 1-line block ×3, first 2 shown]
	v_lshrrev_b32_e32 v23, 16, v24
	v_mul_f16_sdwa v60, v23, v28 dst_sel:DWORD dst_unused:UNUSED_PAD src0_sel:DWORD src1_sel:WORD_1
	v_fmac_f16_e32 v61, v23, v28
	v_fma_f16 v24, v24, v28, -v60
	v_pack_b32_f16 v23, v24, v61
	s_waitcnt lgkmcnt(2)
	v_lshrrev_b32_e32 v24, 16, v25
	s_waitcnt vmcnt(5)
	v_mul_f16_sdwa v28, v25, v30 dst_sel:DWORD dst_unused:UNUSED_PAD src0_sel:DWORD src1_sel:WORD_1
	s_waitcnt lgkmcnt(1)
	v_lshrrev_b32_e32 v60, 16, v51
	s_waitcnt vmcnt(4)
	v_mul_f16_sdwa v61, v51, v55 dst_sel:DWORD dst_unused:UNUSED_PAD src0_sel:DWORD src1_sel:WORD_1
	;; [unrolled: 4-line block ×3, first 2 shown]
	v_lshrrev_b32_e32 v64, 16, v26
	s_waitcnt vmcnt(0)
	v_mul_f16_sdwa v65, v26, v59 dst_sel:DWORD dst_unused:UNUSED_PAD src0_sel:DWORD src1_sel:WORD_1
	v_lshrrev_b32_e32 v66, 16, v52
	v_mul_f16_sdwa v67, v52, v58 dst_sel:DWORD dst_unused:UNUSED_PAD src0_sel:DWORD src1_sel:WORD_1
	v_lshrrev_b32_e32 v68, 16, v54
	v_mul_f16_sdwa v70, v24, v30 dst_sel:DWORD dst_unused:UNUSED_PAD src0_sel:DWORD src1_sel:WORD_1
	v_fmac_f16_e32 v28, v24, v30
	v_mul_f16_sdwa v24, v60, v55 dst_sel:DWORD dst_unused:UNUSED_PAD src0_sel:DWORD src1_sel:WORD_1
	v_fmac_f16_e32 v61, v60, v55
	;; [unrolled: 2-line block ×4, first 2 shown]
	v_mul_f16_sdwa v64, v66, v58 dst_sel:DWORD dst_unused:UNUSED_PAD src0_sel:DWORD src1_sel:WORD_1
	v_mul_f16_sdwa v69, v54, v56 dst_sel:DWORD dst_unused:UNUSED_PAD src0_sel:DWORD src1_sel:WORD_1
	v_fmac_f16_e32 v67, v66, v58
	v_mul_f16_sdwa v66, v68, v56 dst_sel:DWORD dst_unused:UNUSED_PAD src0_sel:DWORD src1_sel:WORD_1
	v_fma_f16 v25, v25, v30, -v70
	v_fma_f16 v24, v51, v55, -v24
	;; [unrolled: 1-line block ×5, first 2 shown]
	v_fmac_f16_e32 v69, v68, v56
	v_fma_f16 v52, v54, v56, -v66
	v_pack_b32_f16 v25, v25, v28
	v_pack_b32_f16 v24, v24, v61
	;; [unrolled: 1-line block ×6, first 2 shown]
	ds_write2_b32 v31, v23, v25 offset0:44 offset1:121
	ds_write2_b32 v31, v26, v24 offset0:165 offset1:242
	;; [unrolled: 1-line block ×3, first 2 shown]
	ds_write_b32 v31, v51 offset:1628
	s_and_saveexec_b32 s2, vcc_lo
	s_cbranch_execz .LBB0_9
; %bb.8:
	v_add_co_u32 v23, s0, s0, v31
	v_add_co_ci_u32_e64 v24, null, s1, 0, s0
	s_clause 0x3
	global_load_dword v28, v[23:24], off offset:352
	global_load_dword v30, v[23:24], off offset:836
	;; [unrolled: 1-line block ×4, first 2 shown]
	ds_read2_b32 v[23:24], v31 offset0:88 offset1:209
	ds_read2_b32 v[25:26], v29 offset0:74 offset1:195
	s_waitcnt lgkmcnt(1)
	v_lshrrev_b32_e32 v53, 16, v23
	v_lshrrev_b32_e32 v54, 16, v24
	s_waitcnt lgkmcnt(0)
	v_lshrrev_b32_e32 v55, 16, v25
	v_lshrrev_b32_e32 v56, 16, v26
	s_waitcnt vmcnt(3)
	v_mul_f16_sdwa v57, v53, v28 dst_sel:DWORD dst_unused:UNUSED_PAD src0_sel:DWORD src1_sel:WORD_1
	v_mul_f16_sdwa v58, v23, v28 dst_sel:DWORD dst_unused:UNUSED_PAD src0_sel:DWORD src1_sel:WORD_1
	s_waitcnt vmcnt(2)
	v_mul_f16_sdwa v59, v54, v30 dst_sel:DWORD dst_unused:UNUSED_PAD src0_sel:DWORD src1_sel:WORD_1
	v_mul_f16_sdwa v60, v24, v30 dst_sel:DWORD dst_unused:UNUSED_PAD src0_sel:DWORD src1_sel:WORD_1
	;; [unrolled: 3-line block ×4, first 2 shown]
	v_fma_f16 v23, v23, v28, -v57
	v_fmac_f16_e32 v58, v53, v28
	v_fma_f16 v24, v24, v30, -v59
	v_fmac_f16_e32 v60, v54, v30
	;; [unrolled: 2-line block ×4, first 2 shown]
	v_pack_b32_f16 v23, v23, v58
	v_pack_b32_f16 v24, v24, v60
	;; [unrolled: 1-line block ×4, first 2 shown]
	ds_write2_b32 v31, v23, v24 offset0:88 offset1:209
	ds_write2_b32 v29, v25, v26 offset0:74 offset1:195
.LBB0_9:
	s_or_b32 exec_lo, exec_lo, s2
	s_waitcnt lgkmcnt(0)
	s_barrier
	buffer_gl0_inv
	ds_read2_b32 v[23:24], v31 offset1:44
	ds_read2_b32 v[25:26], v31 offset0:121 offset1:165
	ds_read2_b32 v[27:28], v27 offset0:114 offset1:158
	;; [unrolled: 1-line block ×3, first 2 shown]
	v_add_nc_u32_e32 v43, 0x2c0, v43
	v_perm_b32 v45, v50, v45, 0x5040100
	v_perm_b32 v44, v44, v49, 0x5040100
	s_and_saveexec_b32 s0, vcc_lo
	s_cbranch_execz .LBB0_11
; %bb.10:
	v_add_nc_u32_e32 v47, 0x400, v31
	ds_read2_b32 v[44:45], v31 offset0:88 offset1:209
	ds_read2_b32 v[49:50], v47 offset0:74 offset1:195
	s_waitcnt lgkmcnt(1)
	v_perm_b32 v47, v44, v45, 0x7060302
	v_perm_b32 v48, v45, v44, 0x5040100
	s_waitcnt lgkmcnt(0)
	v_perm_b32 v45, v49, v50, 0x7060302
	v_perm_b32 v44, v50, v49, 0x5040100
.LBB0_11:
	s_or_b32 exec_lo, exec_lo, s0
	s_waitcnt lgkmcnt(1)
	v_pk_add_f16 v27, v23, v27 neg_lo:[0,1] neg_hi:[0,1]
	v_pk_add_f16 v28, v24, v28 neg_lo:[0,1] neg_hi:[0,1]
	s_waitcnt lgkmcnt(0)
	v_pk_add_f16 v29, v25, v29 neg_lo:[0,1] neg_hi:[0,1]
	v_pk_add_f16 v30, v26, v30 neg_lo:[0,1] neg_hi:[0,1]
	v_lshrrev_b32_e32 v49, 16, v27
	v_lshrrev_b32_e32 v51, 16, v28
	v_add_f16_sdwa v50, v27, v29 dst_sel:DWORD dst_unused:UNUSED_PAD src0_sel:DWORD src1_sel:WORD_1
	v_pk_fma_f16 v23, v23, 2.0, v27 op_sel_hi:[1,0,1] neg_lo:[0,0,1] neg_hi:[0,0,1]
	v_pk_fma_f16 v25, v25, 2.0, v29 op_sel_hi:[1,0,1] neg_lo:[0,0,1] neg_hi:[0,0,1]
	v_sub_f16_e32 v52, v49, v29
	v_add_f16_sdwa v53, v28, v30 dst_sel:DWORD dst_unused:UNUSED_PAD src0_sel:DWORD src1_sel:WORD_1
	v_pk_fma_f16 v54, v24, 2.0, v28 op_sel_hi:[1,0,1] neg_lo:[0,0,1] neg_hi:[0,0,1]
	v_pk_fma_f16 v24, v26, 2.0, v30 op_sel_hi:[1,0,1] neg_lo:[0,0,1] neg_hi:[0,0,1]
	v_sub_f16_e32 v30, v51, v30
	v_fma_f16 v27, v27, 2.0, -v50
	v_pk_add_f16 v25, v23, v25 neg_lo:[0,1] neg_hi:[0,1]
	v_fma_f16 v49, v49, 2.0, -v52
	v_fma_f16 v28, v28, 2.0, -v53
	v_pk_add_f16 v29, v54, v24 neg_lo:[0,1] neg_hi:[0,1]
	v_fma_f16 v51, v51, 2.0, -v30
	v_pk_fma_f16 v23, v23, 2.0, v25 op_sel_hi:[1,0,1] neg_lo:[0,0,1] neg_hi:[0,0,1]
	v_pack_b32_f16 v26, v50, v52
	v_pack_b32_f16 v24, v27, v49
	v_pk_fma_f16 v27, v54, 2.0, v29 op_sel_hi:[1,0,1] neg_lo:[0,0,1] neg_hi:[0,0,1]
	v_pack_b32_f16 v30, v53, v30
	v_pack_b32_f16 v28, v28, v51
	s_barrier
	buffer_gl0_inv
	ds_write_b128 v42, v[23:26]
	ds_write_b128 v43, v[27:30]
	s_and_saveexec_b32 s0, vcc_lo
	s_cbranch_execz .LBB0_13
; %bb.12:
	v_pk_add_f16 v23, v48, v44 neg_lo:[0,1] neg_hi:[0,1]
	v_pk_add_f16 v24, v47, v45 neg_lo:[0,1] neg_hi:[0,1]
	v_lshrrev_b32_e32 v25, 16, v48
	v_lshrrev_b32_e32 v26, 16, v47
	;; [unrolled: 1-line block ×4, first 2 shown]
	v_fma_f16 v29, v48, 2.0, -v23
	v_fma_f16 v30, v47, 2.0, -v24
	v_add_f16_e32 v24, v24, v23
	v_fma_f16 v25, v25, 2.0, -v27
	v_fma_f16 v26, v26, 2.0, -v28
	v_sub_f16_e32 v27, v28, v27
	v_fma_f16 v23, v23, 2.0, -v24
	v_sub_f16_e32 v25, v29, v25
	v_sub_f16_e32 v30, v26, v30
	v_fma_f16 v28, v28, 2.0, -v27
	v_fma_f16 v29, v29, 2.0, -v25
	;; [unrolled: 1-line block ×3, first 2 shown]
	v_pack_b32_f16 v26, v24, v27
	v_pack_b32_f16 v25, v25, v30
	;; [unrolled: 1-line block ×4, first 2 shown]
	ds_write_b128 v41, v[23:26]
.LBB0_13:
	s_or_b32 exec_lo, exec_lo, s0
	s_waitcnt lgkmcnt(0)
	s_barrier
	buffer_gl0_inv
	ds_read2_b32 v[24:25], v31 offset1:44
	ds_read2_b32 v[26:27], v31 offset0:88 offset1:132
	ds_read2_b32 v[28:29], v31 offset0:176 offset1:220
	v_add_nc_u32_e32 v23, 0x400, v31
	ds_read_b32 v30, v31 offset:1760
	ds_read2_b32 v[41:42], v23 offset0:8 offset1:52
	ds_read2_b32 v[43:44], v23 offset0:96 offset1:140
	s_waitcnt lgkmcnt(0)
	s_barrier
	buffer_gl0_inv
	s_mov_b32 s4, 0x6be69c90
	s_mov_b32 s5, 0x3f60ecf5
	v_lshrrev_b32_e32 v45, 16, v25
	v_lshrrev_b32_e32 v47, 16, v26
	;; [unrolled: 1-line block ×3, first 2 shown]
	v_mul_f16_sdwa v52, v4, v25 dst_sel:DWORD dst_unused:UNUSED_PAD src0_sel:WORD_1 src1_sel:DWORD
	v_lshrrev_b32_e32 v48, 16, v27
	v_mul_f16_sdwa v59, v4, v45 dst_sel:DWORD dst_unused:UNUSED_PAD src0_sel:WORD_1 src1_sel:DWORD
	v_mul_f16_sdwa v53, v5, v26 dst_sel:DWORD dst_unused:UNUSED_PAD src0_sel:WORD_1 src1_sel:DWORD
	;; [unrolled: 1-line block ×3, first 2 shown]
	v_fma_f16 v45, v4, v45, -v52
	v_mul_f16_sdwa v52, v5, v47 dst_sel:DWORD dst_unused:UNUSED_PAD src0_sel:WORD_1 src1_sel:DWORD
	v_fmac_f16_e32 v59, v4, v25
	v_mul_f16_sdwa v4, v7, v28 dst_sel:DWORD dst_unused:UNUSED_PAD src0_sel:WORD_1 src1_sel:DWORD
	v_lshrrev_b32_e32 v50, 16, v29
	v_mul_f16_sdwa v54, v6, v27 dst_sel:DWORD dst_unused:UNUSED_PAD src0_sel:WORD_1 src1_sel:DWORD
	v_fma_f16 v47, v5, v47, -v53
	v_mul_f16_sdwa v53, v6, v48 dst_sel:DWORD dst_unused:UNUSED_PAD src0_sel:WORD_1 src1_sel:DWORD
	v_fmac_f16_e32 v52, v5, v26
	v_fmac_f16_e32 v60, v7, v28
	v_fma_f16 v4, v7, v49, -v4
	v_add_f16_e32 v7, v24, v59
	v_lshrrev_b32_e32 v55, 16, v41
	v_fmac_f16_e32 v53, v6, v27
	v_fma_f16 v5, v6, v48, -v54
	v_mul_f16_sdwa v6, v0, v50 dst_sel:DWORD dst_unused:UNUSED_PAD src0_sel:WORD_1 src1_sel:DWORD
	v_mul_f16_sdwa v25, v0, v29 dst_sel:DWORD dst_unused:UNUSED_PAD src0_sel:WORD_1 src1_sel:DWORD
	v_add_f16_sdwa v27, v24, v45 dst_sel:DWORD dst_unused:UNUSED_PAD src0_sel:WORD_1 src1_sel:DWORD
	v_add_f16_e32 v7, v7, v52
	v_lshrrev_b32_e32 v56, 16, v42
	v_mul_f16_sdwa v26, v1, v55 dst_sel:DWORD dst_unused:UNUSED_PAD src0_sel:WORD_1 src1_sel:DWORD
	v_fmac_f16_e32 v6, v0, v29
	v_fma_f16 v0, v0, v50, -v25
	v_mul_f16_sdwa v25, v1, v41 dst_sel:DWORD dst_unused:UNUSED_PAD src0_sel:WORD_1 src1_sel:DWORD
	v_add_f16_e32 v27, v27, v47
	v_add_f16_e32 v7, v7, v53
	v_lshrrev_b32_e32 v57, 16, v43
	v_fmac_f16_e32 v26, v1, v41
	v_mul_f16_sdwa v28, v2, v56 dst_sel:DWORD dst_unused:UNUSED_PAD src0_sel:WORD_1 src1_sel:DWORD
	v_mul_f16_sdwa v29, v2, v42 dst_sel:DWORD dst_unused:UNUSED_PAD src0_sel:WORD_1 src1_sel:DWORD
	v_fma_f16 v1, v1, v55, -v25
	v_add_f16_e32 v25, v27, v5
	v_add_f16_e32 v7, v7, v60
	v_fmac_f16_e32 v28, v2, v42
	v_fma_f16 v2, v2, v56, -v29
	v_mul_f16_sdwa v27, v3, v57 dst_sel:DWORD dst_unused:UNUSED_PAD src0_sel:WORD_1 src1_sel:DWORD
	v_add_f16_e32 v25, v25, v4
	v_add_f16_e32 v7, v7, v6
	v_mul_f16_sdwa v29, v3, v43 dst_sel:DWORD dst_unused:UNUSED_PAD src0_sel:WORD_1 src1_sel:DWORD
	v_lshrrev_b32_e32 v51, 16, v30
	v_lshrrev_b32_e32 v58, 16, v44
	v_fmac_f16_e32 v27, v3, v43
	v_add_f16_e32 v25, v25, v0
	v_add_f16_e32 v7, v7, v26
	v_fma_f16 v3, v3, v57, -v29
	v_mul_f16_sdwa v29, v20, v30 dst_sel:DWORD dst_unused:UNUSED_PAD src0_sel:WORD_1 src1_sel:DWORD
	v_mul_f16_sdwa v41, v19, v58 dst_sel:DWORD dst_unused:UNUSED_PAD src0_sel:WORD_1 src1_sel:DWORD
	v_add_f16_e32 v25, v25, v1
	v_add_f16_e32 v7, v7, v28
	v_mul_f16_sdwa v42, v19, v44 dst_sel:DWORD dst_unused:UNUSED_PAD src0_sel:WORD_1 src1_sel:DWORD
	v_mul_f16_sdwa v43, v20, v51 dst_sel:DWORD dst_unused:UNUSED_PAD src0_sel:WORD_1 src1_sel:DWORD
	v_fma_f16 v29, v20, v51, -v29
	v_fmac_f16_e32 v41, v19, v44
	v_add_f16_e32 v25, v25, v2
	v_add_f16_e32 v7, v7, v27
	v_fma_f16 v19, v19, v58, -v42
	v_fmac_f16_e32 v43, v20, v30
	v_sub_f16_e32 v20, v45, v29
	v_add_f16_e32 v25, v25, v3
	v_add_f16_e32 v7, v7, v41
	;; [unrolled: 1-line block ×4, first 2 shown]
	v_mul_f16_e32 v44, 0xb853, v20
	v_sub_f16_e32 v65, v47, v19
	v_add_f16_e32 v25, v25, v19
	v_sub_f16_e32 v45, v59, v43
	v_mul_f16_e32 v48, 0x3abb, v30
	v_fmamk_f16 v49, v42, 0x3abb, v44
	v_add_f16_e32 v7, v7, v43
	v_mul_f16_e32 v43, 0xbb47, v20
	v_mul_f16_e32 v51, 0x36a6, v30
	;; [unrolled: 1-line block ×8, first 2 shown]
	v_add_f16_e32 v67, v52, v41
	v_mul_f16_e32 v68, 0xbb47, v65
	v_add_f16_e32 v19, v47, v19
	v_add_f16_e32 v25, v25, v29
	v_fmamk_f16 v29, v45, 0x3853, v48
	v_add_f16_e32 v49, v24, v49
	v_fma_f16 v44, v42, 0x3abb, -v44
	v_fmac_f16_e32 v48, 0xb853, v45
	v_fmamk_f16 v50, v42, 0x36a6, v43
	v_fmamk_f16 v55, v45, 0x3b47, v51
	v_fma_f16 v43, v42, 0x36a6, -v43
	v_fmac_f16_e32 v51, 0xbb47, v45
	v_fmamk_f16 v56, v42, 0xb08e, v54
	v_fmamk_f16 v58, v45, 0x3beb, v57
	;; [unrolled: 4-line block ×4, first 2 shown]
	v_fma_f16 v20, v42, 0xbbad, -v20
	v_fmac_f16_e32 v30, 0xb482, v45
	v_sub_f16_e32 v41, v52, v41
	v_fmamk_f16 v42, v67, 0x36a6, v68
	v_mul_f16_e32 v45, 0x36a6, v19
	v_add_f16_sdwa v29, v24, v29 dst_sel:DWORD dst_unused:UNUSED_PAD src0_sel:WORD_1 src1_sel:DWORD
	v_add_f16_e32 v44, v24, v44
	v_add_f16_sdwa v48, v24, v48 dst_sel:DWORD dst_unused:UNUSED_PAD src0_sel:WORD_1 src1_sel:DWORD
	v_add_f16_e32 v50, v24, v50
	;; [unrolled: 2-line block ×10, first 2 shown]
	v_fmamk_f16 v42, v41, 0x3b47, v45
	v_mul_f16_e32 v49, 0xba0c, v65
	v_fma_f16 v52, v67, 0x36a6, -v68
	v_fmac_f16_e32 v45, 0xbb47, v41
	v_mul_f16_e32 v66, 0xb93d, v19
	v_add_f16_e32 v29, v42, v29
	v_fmamk_f16 v42, v67, 0xb93d, v49
	v_add_f16_e32 v44, v52, v44
	v_add_f16_e32 v45, v45, v48
	v_fmamk_f16 v48, v41, 0x3a0c, v66
	v_mul_f16_e32 v52, 0x3482, v65
	v_add_f16_e32 v42, v42, v50
	v_fma_f16 v49, v67, 0xb93d, -v49
	v_fmac_f16_e32 v66, 0xba0c, v41
	v_add_f16_e32 v48, v48, v55
	v_fmamk_f16 v50, v67, 0xbbad, v52
	v_mul_f16_e32 v55, 0xbbad, v19
	v_add_f16_e32 v43, v49, v43
	v_add_f16_e32 v49, v66, v51
	v_mul_f16_e32 v51, 0x3beb, v65
	v_add_f16_e32 v50, v50, v56
	v_fmamk_f16 v56, v41, 0xb482, v55
	v_fma_f16 v52, v67, 0xbbad, -v52
	v_fmac_f16_e32 v55, 0x3482, v41
	v_mul_f16_e32 v68, 0xb08e, v19
	v_fmamk_f16 v66, v67, 0xb08e, v51
	v_mul_f16_e32 v19, 0x3abb, v19
	v_add_f16_e32 v52, v52, v54
	v_add_f16_e32 v54, v55, v57
	v_fmamk_f16 v57, v41, 0xbbeb, v68
	v_fma_f16 v51, v67, 0xb08e, -v51
	v_fmac_f16_e32 v68, 0x3beb, v41
	v_add_f16_e32 v56, v56, v58
	v_mul_f16_e32 v58, 0x3853, v65
	v_add_f16_e32 v57, v57, v63
	v_fmamk_f16 v63, v41, 0xb853, v19
	v_add_f16_e32 v51, v51, v59
	v_add_f16_e32 v59, v68, v61
	v_sub_f16_e32 v61, v5, v3
	v_add_f16_e32 v3, v5, v3
	v_add_f16_e32 v55, v66, v62
	v_fmamk_f16 v62, v67, 0x3abb, v58
	v_add_f16_e32 v47, v63, v47
	v_add_f16_e32 v63, v53, v27
	v_mul_f16_e32 v5, 0xbbeb, v61
	v_fma_f16 v58, v67, 0x3abb, -v58
	v_fmac_f16_e32 v19, 0x3853, v41
	v_sub_f16_e32 v27, v53, v27
	v_mul_f16_e32 v41, 0xb08e, v3
	v_fmamk_f16 v53, v63, 0xb08e, v5
	v_add_f16_e32 v20, v58, v20
	v_add_f16_e32 v19, v19, v24
	v_mul_f16_e32 v24, 0x3482, v61
	v_fmamk_f16 v58, v27, 0x3beb, v41
	v_add_f16_e32 v30, v53, v30
	v_fma_f16 v5, v63, 0xb08e, -v5
	v_fmac_f16_e32 v41, 0xbbeb, v27
	v_fmamk_f16 v53, v63, 0xbbad, v24
	v_add_f16_e32 v29, v58, v29
	v_mul_f16_e32 v58, 0xbbad, v3
	v_add_f16_e32 v5, v5, v44
	v_add_f16_e32 v41, v41, v45
	v_add_f16_e32 v42, v53, v42
	v_mul_f16_e32 v44, 0x3b47, v61
	v_fmamk_f16 v45, v27, 0xb482, v58
	v_mul_f16_e32 v53, 0x36a6, v3
	v_add_f16_e32 v62, v62, v64
	v_fma_f16 v24, v63, 0xbbad, -v24
	v_fmac_f16_e32 v58, 0x3482, v27
	v_fmamk_f16 v64, v63, 0x36a6, v44
	v_add_f16_e32 v45, v45, v48
	v_fmamk_f16 v48, v27, 0xbb47, v53
	v_add_f16_e32 v24, v24, v43
	v_add_f16_e32 v43, v58, v49
	;; [unrolled: 1-line block ×3, first 2 shown]
	v_mul_f16_e32 v50, 0xb853, v61
	v_fma_f16 v44, v63, 0x36a6, -v44
	v_fmac_f16_e32 v53, 0x3b47, v27
	v_add_f16_e32 v48, v48, v56
	v_mul_f16_e32 v56, 0x3abb, v3
	v_fmamk_f16 v58, v63, 0x3abb, v50
	v_add_f16_e32 v44, v44, v52
	v_add_f16_e32 v52, v53, v54
	v_mul_f16_e32 v53, 0xba0c, v61
	v_fmamk_f16 v54, v27, 0x3853, v56
	v_add_f16_e32 v55, v58, v55
	v_fma_f16 v50, v63, 0x3abb, -v50
	v_fmac_f16_e32 v56, 0xb853, v27
	v_fmamk_f16 v58, v63, 0xb93d, v53
	v_add_f16_e32 v54, v54, v57
	v_mul_f16_e32 v3, 0xb93d, v3
	v_sub_f16_e32 v57, v4, v2
	v_add_f16_e32 v2, v4, v2
	v_add_f16_e32 v50, v50, v51
	v_add_f16_e32 v51, v56, v59
	v_add_f16_e32 v56, v58, v62
	v_fmamk_f16 v58, v27, 0x3a0c, v3
	v_fma_f16 v53, v63, 0xb93d, -v53
	v_add_f16_e32 v4, v60, v28
	v_mul_f16_e32 v59, 0xba0c, v57
	v_fmac_f16_e32 v3, 0xba0c, v27
	v_sub_f16_e32 v27, v60, v28
	v_mul_f16_e32 v28, 0xb93d, v2
	v_add_f16_e32 v47, v58, v47
	v_fmamk_f16 v58, v4, 0xb93d, v59
	v_add_f16_e32 v20, v53, v20
	v_add_f16_e32 v3, v3, v19
	v_fmamk_f16 v19, v27, 0x3a0c, v28
	v_mul_f16_e32 v53, 0x3beb, v57
	v_fmac_f16_e32 v28, 0xba0c, v27
	v_add_f16_e32 v30, v58, v30
	v_fma_f16 v58, v4, 0xb93d, -v59
	v_add_f16_e32 v19, v19, v29
	v_fmamk_f16 v29, v4, 0xb08e, v53
	v_mul_f16_e32 v59, 0xb08e, v2
	v_add_f16_e32 v28, v28, v41
	v_mul_f16_e32 v41, 0xb853, v57
	v_add_f16_e32 v5, v58, v5
	v_add_f16_e32 v29, v29, v42
	v_fmamk_f16 v42, v27, 0xbbeb, v59
	v_fma_f16 v53, v4, 0xb08e, -v53
	v_fmamk_f16 v58, v4, 0x3abb, v41
	v_mul_f16_e32 v60, 0x3abb, v2
	v_fma_f16 v41, v4, 0x3abb, -v41
	v_add_f16_e32 v42, v42, v45
	v_add_f16_e32 v24, v53, v24
	;; [unrolled: 1-line block ×3, first 2 shown]
	v_fmamk_f16 v49, v27, 0x3853, v60
	v_mul_f16_e32 v53, 0xb482, v57
	v_fmac_f16_e32 v60, 0xb853, v27
	v_mul_f16_e32 v58, 0xbbad, v2
	v_add_f16_e32 v41, v41, v44
	v_add_f16_e32 v48, v49, v48
	v_fmamk_f16 v49, v4, 0xbbad, v53
	v_add_f16_e32 v44, v60, v52
	v_fmamk_f16 v52, v27, 0x3482, v58
	v_mul_f16_e32 v57, 0x3b47, v57
	v_fma_f16 v53, v4, 0xbbad, -v53
	v_mul_f16_e32 v2, 0x36a6, v2
	v_add_f16_e32 v49, v49, v55
	v_add_f16_e32 v52, v52, v54
	v_fmamk_f16 v54, v4, 0x36a6, v57
	v_add_f16_e32 v50, v53, v50
	v_sub_f16_e32 v53, v0, v1
	v_add_f16_e32 v0, v0, v1
	v_fmamk_f16 v55, v27, 0xbb47, v2
	v_add_f16_e32 v54, v54, v56
	v_add_f16_e32 v56, v6, v26
	v_mul_f16_e32 v1, 0xb482, v53
	v_fmac_f16_e32 v2, 0x3b47, v27
	v_sub_f16_e32 v6, v6, v26
	v_mul_f16_e32 v26, 0xbbad, v0
	v_fmac_f16_e32 v59, 0x3beb, v27
	v_fmac_f16_e32 v58, 0xb482, v27
	v_fma_f16 v4, v4, 0x36a6, -v57
	v_fmamk_f16 v27, v56, 0xbbad, v1
	v_add_f16_e32 v2, v2, v3
	v_fmamk_f16 v3, v6, 0x3482, v26
	v_fma_f16 v1, v56, 0xbbad, -v1
	v_add_f16_e32 v4, v4, v20
	v_add_f16_e32 v20, v27, v30
	v_mul_f16_e32 v27, 0x3853, v53
	v_fmac_f16_e32 v26, 0xb482, v6
	v_add_f16_e32 v3, v3, v19
	v_mul_f16_e32 v19, 0x3abb, v0
	v_add_f16_e32 v1, v1, v5
	v_fmamk_f16 v30, v56, 0x3abb, v27
	v_add_f16_e32 v5, v26, v28
	v_mul_f16_e32 v26, 0xba0c, v53
	v_fmamk_f16 v28, v6, 0xb853, v19
	v_add_f16_e32 v43, v59, v43
	v_add_f16_e32 v29, v30, v29
	v_fma_f16 v27, v56, 0x3abb, -v27
	v_fmac_f16_e32 v19, 0x3853, v6
	v_fmamk_f16 v30, v56, 0xb93d, v26
	v_add_f16_e32 v28, v28, v42
	v_mul_f16_e32 v42, 0xb93d, v0
	v_add_f16_e32 v24, v27, v24
	v_add_f16_e32 v19, v19, v43
	;; [unrolled: 1-line block ×3, first 2 shown]
	v_mul_f16_e32 v30, 0x3b47, v53
	v_fmamk_f16 v43, v6, 0x3a0c, v42
	v_add_f16_e32 v47, v55, v47
	v_fma_f16 v26, v56, 0xb93d, -v26
	v_fmac_f16_e32 v42, 0xba0c, v6
	v_mul_f16_e32 v45, 0x36a6, v0
	v_fmamk_f16 v55, v56, 0x36a6, v30
	v_add_f16_e32 v43, v43, v48
	v_mul_f16_e32 v48, 0xbbeb, v53
	v_fma_f16 v30, v56, 0x36a6, -v30
	v_mul_f16_e32 v0, 0xb08e, v0
	v_add_f16_e32 v26, v26, v41
	v_add_f16_e32 v41, v42, v44
	v_fmamk_f16 v42, v6, 0xbb47, v45
	v_add_f16_e32 v44, v55, v49
	v_fmamk_f16 v49, v56, 0xb08e, v48
	;; [unrolled: 2-line block ×3, first 2 shown]
	v_add_f16_e32 v51, v58, v51
	v_fmac_f16_e32 v45, 0x3b47, v6
	v_fma_f16 v48, v56, 0xb08e, -v48
	v_fmac_f16_e32 v0, 0xbbeb, v6
	v_pack_b32_f16 v7, v7, v25
	v_pack_b32_f16 v3, v20, v3
	v_add_f16_e32 v42, v42, v52
	v_add_f16_e32 v49, v49, v54
	;; [unrolled: 1-line block ×6, first 2 shown]
	ds_write2_b32 v46, v7, v3 offset1:4
	v_pack_b32_f16 v2, v29, v28
	v_pack_b32_f16 v3, v27, v43
	;; [unrolled: 1-line block ×9, first 2 shown]
	ds_write2_b32 v46, v2, v3 offset0:8 offset1:12
	ds_write2_b32 v46, v7, v6 offset0:16 offset1:20
	;; [unrolled: 1-line block ×4, first 2 shown]
	ds_write_b32 v46, v1 offset:160
	s_waitcnt lgkmcnt(0)
	s_barrier
	buffer_gl0_inv
	ds_read2_b32 v[0:1], v31 offset1:44
	ds_read2_b32 v[2:3], v31 offset0:88 offset1:132
	ds_read2_b32 v[4:5], v31 offset0:176 offset1:220
	;; [unrolled: 1-line block ×4, first 2 shown]
	ds_read_b32 v24, v31 offset:1760
	s_waitcnt lgkmcnt(5)
	v_lshrrev_b32_e32 v25, 16, v1
	s_waitcnt lgkmcnt(4)
	v_lshrrev_b32_e32 v26, 16, v2
	v_lshrrev_b32_e32 v27, 16, v3
	s_waitcnt lgkmcnt(3)
	v_lshrrev_b32_e32 v28, 16, v4
	v_mul_f16_sdwa v44, v12, v1 dst_sel:DWORD dst_unused:UNUSED_PAD src0_sel:WORD_1 src1_sel:DWORD
	v_mul_f16_sdwa v43, v12, v25 dst_sel:DWORD dst_unused:UNUSED_PAD src0_sel:WORD_1 src1_sel:DWORD
	;; [unrolled: 1-line block ×3, first 2 shown]
	v_lshrrev_b32_e32 v29, 16, v5
	s_waitcnt lgkmcnt(2)
	v_lshrrev_b32_e32 v30, 16, v6
	v_lshrrev_b32_e32 v41, 16, v7
	v_fmac_f16_e32 v43, v12, v1
	v_fma_f16 v1, v12, v25, -v44
	v_mul_f16_sdwa v12, v13, v2 dst_sel:DWORD dst_unused:UNUSED_PAD src0_sel:WORD_1 src1_sel:DWORD
	v_fmac_f16_e32 v46, v13, v2
	v_mul_f16_sdwa v2, v14, v27 dst_sel:DWORD dst_unused:UNUSED_PAD src0_sel:WORD_1 src1_sel:DWORD
	v_mul_f16_sdwa v25, v14, v3 dst_sel:DWORD dst_unused:UNUSED_PAD src0_sel:WORD_1 src1_sel:DWORD
	;; [unrolled: 1-line block ×3, first 2 shown]
	v_fma_f16 v12, v13, v26, -v12
	v_mul_f16_sdwa v13, v15, v4 dst_sel:DWORD dst_unused:UNUSED_PAD src0_sel:WORD_1 src1_sel:DWORD
	v_fmac_f16_e32 v2, v14, v3
	v_fma_f16 v3, v14, v27, -v25
	v_fmac_f16_e32 v44, v15, v4
	v_mul_f16_sdwa v4, v8, v29 dst_sel:DWORD dst_unused:UNUSED_PAD src0_sel:WORD_1 src1_sel:DWORD
	v_add_f16_e32 v14, v0, v43
	v_fma_f16 v13, v15, v28, -v13
	v_mul_f16_sdwa v15, v8, v5 dst_sel:DWORD dst_unused:UNUSED_PAD src0_sel:WORD_1 src1_sel:DWORD
	v_mul_f16_sdwa v25, v9, v30 dst_sel:DWORD dst_unused:UNUSED_PAD src0_sel:WORD_1 src1_sel:DWORD
	v_fmac_f16_e32 v4, v8, v5
	v_add_f16_sdwa v5, v0, v1 dst_sel:DWORD dst_unused:UNUSED_PAD src0_sel:WORD_1 src1_sel:DWORD
	v_add_f16_e32 v14, v14, v46
	s_waitcnt lgkmcnt(1)
	v_lshrrev_b32_e32 v42, 16, v19
	v_fmac_f16_e32 v25, v9, v6
	v_mul_f16_sdwa v6, v9, v6 dst_sel:DWORD dst_unused:UNUSED_PAD src0_sel:WORD_1 src1_sel:DWORD
	v_add_f16_e32 v5, v5, v12
	v_add_f16_e32 v14, v14, v2
	v_fma_f16 v8, v8, v29, -v15
	v_mul_f16_sdwa v15, v10, v41 dst_sel:DWORD dst_unused:UNUSED_PAD src0_sel:WORD_1 src1_sel:DWORD
	v_mul_f16_sdwa v26, v10, v7 dst_sel:DWORD dst_unused:UNUSED_PAD src0_sel:WORD_1 src1_sel:DWORD
	v_fma_f16 v6, v9, v30, -v6
	v_add_f16_e32 v5, v5, v3
	v_add_f16_e32 v9, v14, v44
	v_lshrrev_b32_e32 v45, 16, v20
	v_fmac_f16_e32 v15, v10, v7
	v_fma_f16 v7, v10, v41, -v26
	v_mul_f16_sdwa v10, v11, v42 dst_sel:DWORD dst_unused:UNUSED_PAD src0_sel:WORD_1 src1_sel:DWORD
	v_add_f16_e32 v5, v5, v13
	v_add_f16_e32 v9, v9, v4
	v_mul_f16_sdwa v14, v11, v19 dst_sel:DWORD dst_unused:UNUSED_PAD src0_sel:WORD_1 src1_sel:DWORD
	s_waitcnt lgkmcnt(0)
	v_lshrrev_b32_e32 v47, 16, v24
	v_mul_f16_sdwa v26, v21, v45 dst_sel:DWORD dst_unused:UNUSED_PAD src0_sel:WORD_1 src1_sel:DWORD
	v_fmac_f16_e32 v10, v11, v19
	v_add_f16_e32 v5, v5, v8
	v_add_f16_e32 v9, v9, v25
	v_fma_f16 v11, v11, v42, -v14
	v_mul_f16_sdwa v14, v22, v24 dst_sel:DWORD dst_unused:UNUSED_PAD src0_sel:WORD_1 src1_sel:DWORD
	v_fmac_f16_e32 v26, v21, v20
	v_add_f16_e32 v5, v5, v6
	v_add_f16_e32 v9, v9, v15
	v_mul_f16_sdwa v19, v21, v20 dst_sel:DWORD dst_unused:UNUSED_PAD src0_sel:WORD_1 src1_sel:DWORD
	v_mul_f16_sdwa v20, v22, v47 dst_sel:DWORD dst_unused:UNUSED_PAD src0_sel:WORD_1 src1_sel:DWORD
	v_fma_f16 v14, v22, v47, -v14
	v_add_f16_e32 v5, v5, v7
	v_add_f16_e32 v9, v9, v10
	v_fma_f16 v19, v21, v45, -v19
	v_fmac_f16_e32 v20, v22, v24
	v_sub_f16_e32 v21, v1, v14
	v_add_f16_e32 v5, v5, v11
	v_add_f16_e32 v9, v9, v26
	;; [unrolled: 1-line block ×4, first 2 shown]
	v_mul_f16_e32 v24, 0xb853, v21
	v_sub_f16_e32 v54, v12, v19
	v_add_f16_e32 v5, v5, v19
	v_sub_f16_e32 v27, v43, v20
	v_mul_f16_e32 v28, 0x3abb, v1
	v_fmamk_f16 v29, v22, 0x3abb, v24
	v_add_f16_e32 v9, v9, v20
	v_mul_f16_e32 v20, 0xbb47, v21
	v_mul_f16_e32 v41, 0x36a6, v1
	;; [unrolled: 1-line block ×8, first 2 shown]
	v_add_f16_e32 v56, v46, v26
	v_mul_f16_e32 v57, 0xbb47, v54
	v_add_f16_e32 v12, v12, v19
	v_add_f16_e32 v5, v5, v14
	v_fmamk_f16 v14, v27, 0x3853, v28
	v_add_f16_e32 v29, v0, v29
	v_fma_f16 v24, v22, 0x3abb, -v24
	v_fmac_f16_e32 v28, 0xb853, v27
	v_fmamk_f16 v30, v22, 0x36a6, v20
	v_fmamk_f16 v43, v27, 0x3b47, v41
	v_fma_f16 v20, v22, 0x36a6, -v20
	v_fmac_f16_e32 v41, 0xbb47, v27
	v_fmamk_f16 v45, v22, 0xb08e, v42
	v_fmamk_f16 v48, v27, 0x3beb, v47
	;; [unrolled: 4-line block ×4, first 2 shown]
	v_fma_f16 v19, v22, 0xbbad, -v21
	v_fmac_f16_e32 v1, 0xb482, v27
	v_sub_f16_e32 v21, v46, v26
	v_fmamk_f16 v22, v56, 0x36a6, v57
	v_mul_f16_e32 v26, 0x36a6, v12
	v_add_f16_sdwa v14, v0, v14 dst_sel:DWORD dst_unused:UNUSED_PAD src0_sel:WORD_1 src1_sel:DWORD
	v_add_f16_e32 v24, v0, v24
	v_add_f16_sdwa v28, v0, v28 dst_sel:DWORD dst_unused:UNUSED_PAD src0_sel:WORD_1 src1_sel:DWORD
	v_add_f16_e32 v30, v0, v30
	;; [unrolled: 2-line block ×10, first 2 shown]
	v_fmamk_f16 v22, v21, 0x3b47, v26
	v_mul_f16_e32 v29, 0xba0c, v54
	v_fma_f16 v46, v56, 0x36a6, -v57
	v_fmac_f16_e32 v26, 0xbb47, v21
	v_mul_f16_e32 v55, 0xb93d, v12
	v_add_f16_e32 v14, v22, v14
	v_fmamk_f16 v22, v56, 0xb93d, v29
	v_add_f16_e32 v24, v46, v24
	v_add_f16_e32 v26, v26, v28
	v_fmamk_f16 v28, v21, 0x3a0c, v55
	v_mul_f16_e32 v46, 0x3482, v54
	v_add_f16_e32 v22, v22, v30
	v_fma_f16 v29, v56, 0xb93d, -v29
	v_fmac_f16_e32 v55, 0xba0c, v21
	v_add_f16_e32 v28, v28, v43
	v_fmamk_f16 v30, v56, 0xbbad, v46
	v_mul_f16_e32 v43, 0xbbad, v12
	v_add_f16_e32 v20, v29, v20
	v_add_f16_e32 v29, v55, v41
	v_mul_f16_e32 v41, 0x3beb, v54
	v_add_f16_e32 v30, v30, v45
	v_fmamk_f16 v45, v21, 0xb482, v43
	v_fmac_f16_e32 v43, 0x3482, v21
	v_mul_f16_e32 v57, 0xb08e, v12
	v_fmamk_f16 v55, v56, 0xb08e, v41
	v_mul_f16_e32 v12, 0x3abb, v12
	v_fma_f16 v41, v56, 0xb08e, -v41
	v_add_f16_e32 v43, v43, v47
	v_fmamk_f16 v47, v21, 0xbbeb, v57
	v_fmac_f16_e32 v57, 0x3beb, v21
	v_fma_f16 v46, v56, 0xbbad, -v46
	v_add_f16_e32 v45, v45, v48
	v_mul_f16_e32 v48, 0x3853, v54
	v_add_f16_e32 v47, v47, v52
	v_fmamk_f16 v52, v21, 0xb853, v12
	v_add_f16_e32 v41, v41, v49
	v_add_f16_e32 v49, v57, v50
	v_sub_f16_e32 v50, v3, v11
	v_add_f16_e32 v3, v3, v11
	v_add_f16_e32 v42, v46, v42
	v_add_f16_e32 v46, v55, v51
	v_fmamk_f16 v51, v56, 0x3abb, v48
	v_add_f16_e32 v27, v52, v27
	v_add_f16_e32 v52, v2, v10
	v_mul_f16_e32 v11, 0xbbeb, v50
	v_fma_f16 v48, v56, 0x3abb, -v48
	v_fmac_f16_e32 v12, 0x3853, v21
	v_sub_f16_e32 v2, v2, v10
	v_mul_f16_e32 v10, 0xb08e, v3
	v_fmamk_f16 v21, v52, 0xb08e, v11
	v_add_f16_e32 v19, v48, v19
	v_add_f16_e32 v0, v12, v0
	v_mul_f16_e32 v12, 0x3482, v50
	v_fmamk_f16 v48, v2, 0x3beb, v10
	v_add_f16_e32 v1, v21, v1
	v_fma_f16 v11, v52, 0xb08e, -v11
	v_fmac_f16_e32 v10, 0xbbeb, v2
	v_fmamk_f16 v21, v52, 0xbbad, v12
	v_add_f16_e32 v14, v48, v14
	v_mul_f16_e32 v48, 0xbbad, v3
	v_add_f16_e32 v11, v11, v24
	v_add_f16_e32 v10, v10, v26
	;; [unrolled: 1-line block ×3, first 2 shown]
	v_mul_f16_e32 v22, 0x3b47, v50
	v_fmamk_f16 v24, v2, 0xb482, v48
	v_mul_f16_e32 v26, 0x36a6, v3
	v_add_f16_e32 v51, v51, v53
	v_fma_f16 v12, v52, 0xbbad, -v12
	v_fmac_f16_e32 v48, 0x3482, v2
	v_fmamk_f16 v53, v52, 0x36a6, v22
	v_add_f16_e32 v24, v24, v28
	v_fmamk_f16 v28, v2, 0xbb47, v26
	v_add_f16_e32 v12, v12, v20
	v_add_f16_e32 v20, v48, v29
	;; [unrolled: 1-line block ×3, first 2 shown]
	v_mul_f16_e32 v30, 0xb853, v50
	v_fma_f16 v22, v52, 0x36a6, -v22
	v_fmac_f16_e32 v26, 0x3b47, v2
	v_add_f16_e32 v28, v28, v45
	v_mul_f16_e32 v45, 0x3abb, v3
	v_fmamk_f16 v48, v52, 0x3abb, v30
	v_add_f16_e32 v22, v22, v42
	v_add_f16_e32 v26, v26, v43
	v_mul_f16_e32 v42, 0xba0c, v50
	v_fmamk_f16 v43, v2, 0x3853, v45
	v_add_f16_e32 v46, v48, v46
	v_fma_f16 v30, v52, 0x3abb, -v30
	v_fmac_f16_e32 v45, 0xb853, v2
	v_fmamk_f16 v48, v52, 0xb93d, v42
	v_add_f16_e32 v43, v43, v47
	v_mul_f16_e32 v3, 0xb93d, v3
	v_sub_f16_e32 v47, v13, v7
	v_add_f16_e32 v7, v13, v7
	v_add_f16_e32 v30, v30, v41
	;; [unrolled: 1-line block ×4, first 2 shown]
	v_fmamk_f16 v48, v2, 0x3a0c, v3
	v_fma_f16 v42, v52, 0xb93d, -v42
	v_add_f16_e32 v13, v44, v15
	v_mul_f16_e32 v49, 0xba0c, v47
	v_fmac_f16_e32 v3, 0xba0c, v2
	v_sub_f16_e32 v2, v44, v15
	v_mul_f16_e32 v15, 0xb93d, v7
	v_add_f16_e32 v19, v42, v19
	v_fmamk_f16 v44, v13, 0xb93d, v49
	v_add_f16_e32 v0, v3, v0
	v_mul_f16_e32 v42, 0x3beb, v47
	v_fmamk_f16 v3, v2, 0x3a0c, v15
	v_fmac_f16_e32 v15, 0xba0c, v2
	v_add_f16_e32 v27, v48, v27
	v_add_f16_e32 v1, v44, v1
	v_fma_f16 v44, v13, 0xb93d, -v49
	v_add_f16_e32 v3, v3, v14
	v_fmamk_f16 v14, v13, 0xb08e, v42
	v_mul_f16_e32 v48, 0xb08e, v7
	v_add_f16_e32 v10, v15, v10
	v_mul_f16_e32 v15, 0xb853, v47
	v_add_f16_e32 v11, v44, v11
	v_add_f16_e32 v14, v14, v21
	v_fmamk_f16 v21, v2, 0xbbeb, v48
	v_fma_f16 v42, v13, 0xb08e, -v42
	v_fmamk_f16 v44, v13, 0x3abb, v15
	v_mul_f16_e32 v49, 0x3abb, v7
	v_fma_f16 v15, v13, 0x3abb, -v15
	v_add_f16_e32 v21, v21, v24
	v_add_f16_e32 v12, v42, v12
	v_add_f16_e32 v24, v44, v29
	v_fmamk_f16 v29, v2, 0x3853, v49
	v_mul_f16_e32 v42, 0xb482, v47
	v_mul_f16_e32 v44, 0xbbad, v7
	v_add_f16_e32 v15, v15, v22
	v_mul_f16_e32 v47, 0x3b47, v47
	v_add_f16_e32 v28, v29, v28
	v_fmamk_f16 v29, v13, 0xbbad, v42
	v_fmamk_f16 v22, v2, 0x3482, v44
	v_fma_f16 v42, v13, 0xbbad, -v42
	v_fmac_f16_e32 v44, 0xb482, v2
	v_mul_f16_e32 v7, 0x36a6, v7
	v_add_f16_e32 v29, v29, v46
	v_add_f16_e32 v22, v22, v43
	v_fmamk_f16 v43, v13, 0x36a6, v47
	v_add_f16_e32 v30, v42, v30
	v_sub_f16_e32 v42, v8, v6
	v_add_f16_e32 v6, v8, v6
	v_fmac_f16_e32 v48, 0x3beb, v2
	v_add_f16_e32 v43, v43, v45
	v_add_f16_e32 v45, v4, v25
	v_mul_f16_e32 v46, 0xb482, v42
	v_fmac_f16_e32 v49, 0xb853, v2
	v_add_f16_e32 v41, v44, v41
	v_fmamk_f16 v44, v2, 0xbb47, v7
	v_fma_f16 v8, v13, 0x36a6, -v47
	v_fmac_f16_e32 v7, 0x3b47, v2
	v_sub_f16_e32 v2, v4, v25
	v_fmamk_f16 v4, v45, 0xbbad, v46
	v_mul_f16_e32 v13, 0xbbad, v6
	v_add_f16_e32 v25, v44, v27
	v_add_f16_e32 v8, v8, v19
	;; [unrolled: 1-line block ×4, first 2 shown]
	v_fmamk_f16 v4, v2, 0x3482, v13
	v_mul_f16_e32 v7, 0x3853, v42
	v_fma_f16 v19, v45, 0xbbad, -v46
	v_fmac_f16_e32 v13, 0xb482, v2
	v_mul_f16_e32 v27, 0x3abb, v6
	v_add_f16_e32 v20, v48, v20
	v_add_f16_e32 v3, v4, v3
	v_fmamk_f16 v4, v45, 0x3abb, v7
	v_add_f16_e32 v11, v19, v11
	v_add_f16_e32 v10, v13, v10
	v_fmamk_f16 v13, v2, 0xb853, v27
	v_mul_f16_e32 v19, 0xba0c, v42
	v_fma_f16 v7, v45, 0x3abb, -v7
	v_fmac_f16_e32 v27, 0x3853, v2
	v_add_f16_e32 v4, v4, v14
	v_add_f16_e32 v13, v13, v21
	v_fmamk_f16 v14, v45, 0xb93d, v19
	v_mul_f16_e32 v21, 0xb93d, v6
	v_add_f16_e32 v7, v7, v12
	v_add_f16_e32 v12, v27, v20
	v_mul_f16_e32 v20, 0x3b47, v42
	v_add_f16_e32 v26, v49, v26
	v_add_f16_e32 v14, v14, v24
	v_fmamk_f16 v24, v2, 0x3a0c, v21
	v_fma_f16 v19, v45, 0xb93d, -v19
	v_fmac_f16_e32 v21, 0xba0c, v2
	v_fmamk_f16 v27, v45, 0x36a6, v20
	v_mul_f16_e32 v44, 0x36a6, v6
	v_mul_f16_e32 v6, 0xb08e, v6
	v_add_f16_e32 v15, v19, v15
	v_add_f16_e32 v19, v21, v26
	;; [unrolled: 1-line block ×3, first 2 shown]
	v_mul_f16_e32 v27, 0xbbeb, v42
	v_add_f16_e32 v24, v24, v28
	v_fmamk_f16 v26, v2, 0xbb47, v44
	v_fmamk_f16 v29, v2, 0x3beb, v6
	v_fma_f16 v20, v45, 0x36a6, -v20
	v_fmamk_f16 v28, v45, 0xb08e, v27
	v_fmac_f16_e32 v44, 0x3b47, v2
	v_fma_f16 v27, v45, 0xb08e, -v27
	v_fmac_f16_e32 v6, 0xbbeb, v2
	v_pack_b32_f16 v2, v9, v5
	v_pack_b32_f16 v1, v1, v3
	v_add_f16_e32 v22, v26, v22
	v_add_f16_e32 v3, v28, v43
	;; [unrolled: 1-line block ×7, first 2 shown]
	ds_write2_b32 v31, v2, v1 offset1:44
	v_pack_b32_f16 v1, v4, v13
	v_pack_b32_f16 v2, v14, v24
	;; [unrolled: 1-line block ×9, first 2 shown]
	ds_write2_b32 v31, v1, v2 offset0:88 offset1:132
	ds_write2_b32 v31, v4, v3 offset0:176 offset1:220
	;; [unrolled: 1-line block ×4, first 2 shown]
	ds_write_b32 v31, v8 offset:1760
	s_waitcnt lgkmcnt(0)
	s_barrier
	buffer_gl0_inv
	ds_read2_b32 v[4:5], v31 offset1:44
	s_waitcnt lgkmcnt(0)
	v_lshrrev_b32_e32 v2, 16, v4
	v_mul_f16_sdwa v3, v40, v4 dst_sel:DWORD dst_unused:UNUSED_PAD src0_sel:WORD_1 src1_sel:DWORD
	v_mul_f16_sdwa v0, v40, v2 dst_sel:DWORD dst_unused:UNUSED_PAD src0_sel:WORD_1 src1_sel:DWORD
	v_fma_f16 v2, v40, v2, -v3
	v_fmac_f16_e32 v0, v40, v4
	v_cvt_f32_f16_e32 v2, v2
	v_cvt_f32_f16_e32 v0, v0
	v_cvt_f64_f32_e32 v[2:3], v2
	v_cvt_f64_f32_e32 v[0:1], v0
	v_mul_f64 v[3:4], v[2:3], s[4:5]
	v_mul_f64 v[6:7], v[0:1], s[4:5]
	ds_read2_b32 v[1:2], v31 offset0:121 offset1:165
	v_and_or_b32 v3, 0x1ff, v4, v3
	v_lshrrev_b32_e32 v11, 8, v4
	v_bfe_u32 v14, v4, 20, 11
	s_waitcnt lgkmcnt(0)
	v_lshrrev_b32_e32 v12, 16, v1
	v_and_or_b32 v0, 0x1ff, v7, v6
	v_lshrrev_b32_e32 v6, 8, v7
	v_bfe_u32 v8, v7, 20, 11
	v_lshrrev_b32_e32 v4, 16, v4
	v_mul_f16_sdwa v13, v39, v12 dst_sel:DWORD dst_unused:UNUSED_PAD src0_sel:WORD_1 src1_sel:DWORD
	v_cmp_ne_u32_e64 s0, 0, v0
	v_add_nc_u32_e32 v15, 0xfffffc10, v8
	v_fmac_f16_e32 v13, v39, v1
	v_cndmask_b32_e64 v0, 0, 1, s0
	v_cmp_ne_u32_e64 s0, 0, v3
	v_mul_f16_sdwa v1, v39, v1 dst_sel:DWORD dst_unused:UNUSED_PAD src0_sel:WORD_1 src1_sel:DWORD
	v_cmp_eq_u32_e64 s2, 0x40f, v15
	v_and_or_b32 v6, 0xffe, v6, v0
	v_sub_nc_u32_e32 v0, 0x3f1, v8
	v_cndmask_b32_e64 v3, 0, 1, s0
	v_cvt_f32_f16_e32 v8, v13
	v_fma_f16 v1, v39, v12, -v1
	v_or_b32_e32 v9, 0x1000, v6
	v_med3_i32 v0, v0, 0, 13
	v_and_or_b32 v3, 0xffe, v11, v3
	v_sub_nc_u32_e32 v11, 0x3f1, v14
	v_lshl_or_b32 v20, v15, 12, v6
	v_cvt_f32_f16_e32 v1, v1
	v_lshrrev_b32_e32 v10, v0, v9
	v_or_b32_e32 v13, 0x1000, v3
	v_med3_i32 v19, v11, 0, 13
	v_lshlrev_b32_e32 v0, v0, v10
	v_lshrrev_b32_e32 v21, v19, v13
	v_cmp_ne_u32_e64 s0, v0, v9
	v_cvt_f64_f32_e32 v[8:9], v8
	v_lshlrev_b32_e32 v19, v19, v21
	v_cndmask_b32_e64 v0, 0, 1, s0
	v_cmp_gt_i32_e64 s0, 1, v15
	v_or_b32_e32 v0, v10, v0
	v_mad_u64_u32 v[10:11], null, s10, v18, 0
	v_cndmask_b32_e64 v20, v20, v0, s0
	v_cmp_ne_u32_e64 s0, v19, v13
	v_add_nc_u32_e32 v19, 0xfffffc10, v14
	v_mov_b32_e32 v0, v11
	v_and_b32_e32 v22, 7, v20
	v_cndmask_b32_e64 v11, 0, 1, s0
	v_lshrrev_b32_e32 v13, 2, v20
	v_lshl_or_b32 v14, v19, 12, v3
	v_mul_f64 v[8:9], v[8:9], s[4:5]
	v_cmp_lt_i32_e64 s0, 5, v22
	v_cmp_eq_u32_e64 s1, 3, v22
	v_or_b32_e32 v11, v21, v11
	s_or_b32 s0, s1, s0
	v_add_co_ci_u32_e64 v13, s0, 0, v13, s0
	v_cmp_gt_i32_e64 s0, 1, v19
	v_cndmask_b32_e64 v20, v14, v11, s0
	v_cmp_ne_u32_e64 s0, 0, v6
	v_cvt_f64_f32_e32 v[11:12], v1
	v_and_b32_e32 v22, 7, v20
	v_cndmask_b32_e64 v6, 0, 1, s0
	v_cmp_gt_i32_e64 s0, 31, v15
	v_cmp_eq_u32_e64 s1, 3, v22
	v_lshl_or_b32 v6, v6, 9, 0x7c00
	v_cndmask_b32_e64 v21, 0x7c00, v13, s0
	v_cmp_lt_i32_e64 s0, 5, v22
	v_mad_u64_u32 v[13:14], null, s11, v18, v[0:1]
	v_lshrrev_b32_e32 v0, 2, v20
	v_cndmask_b32_e64 v18, v21, v6, s2
	s_or_b32 s0, s1, s0
	v_and_or_b32 v1, 0x1ff, v9, v8
	v_lshrrev_b32_e32 v14, 8, v9
	v_add_co_ci_u32_e64 v6, s0, 0, v0, s0
	v_cmp_ne_u32_e64 s0, 0, v3
	v_add_nc_u32_e32 v0, 0x200, v31
	v_bfe_u32 v21, v9, 20, 11
	v_lshrrev_b32_e32 v20, 16, v7
	v_lshrrev_b32_e32 v9, 16, v9
	v_cndmask_b32_e64 v3, 0, 1, s0
	v_cmp_ne_u32_e64 s0, 0, v1
	ds_read2_b32 v[0:1], v0 offset0:114 offset1:158
	v_and_or_b32 v18, 0x8000, v20, v18
	v_lshl_or_b32 v3, v3, 9, 0x7c00
	v_cndmask_b32_e64 v8, 0, 1, s0
	v_cmp_gt_i32_e64 s0, 31, v19
	v_and_or_b32 v8, 0xffe, v14, v8
	v_cndmask_b32_e64 v22, 0x7c00, v6, s0
	v_mul_f64 v[6:7], v[11:12], s[4:5]
	v_sub_nc_u32_e32 v11, 0x3f1, v21
	v_mad_u64_u32 v[14:15], null, s8, v37, 0
	v_or_b32_e32 v12, 0x1000, v8
	v_cmp_eq_u32_e64 s0, 0x40f, v19
	v_med3_i32 v24, v11, 0, 13
	v_mov_b32_e32 v11, v13
	v_add_nc_u32_e32 v21, 0xfffffc10, v21
	s_waitcnt lgkmcnt(0)
	v_lshrrev_b32_e32 v20, 16, v0
	v_cndmask_b32_e64 v19, v22, v3, s0
	v_lshrrev_b32_e32 v13, v24, v12
	v_mov_b32_e32 v3, v15
	v_lshl_or_b32 v25, v21, 12, v8
	v_lshlrev_b64 v[10:11], 2, v[10:11]
	v_and_or_b32 v19, 0x8000, v4, v19
	v_lshlrev_b32_e32 v15, v24, v13
	v_mad_u64_u32 v[3:4], null, s9, v37, v[3:4]
	v_and_b32_e32 v4, 0xffff, v18
	v_mul_f16_sdwa v18, v38, v20 dst_sel:DWORD dst_unused:UNUSED_PAD src0_sel:WORD_1 src1_sel:DWORD
	v_cmp_ne_u32_e64 s0, v15, v12
	v_and_or_b32 v6, 0x1ff, v7, v6
	v_lshrrev_b32_e32 v15, 8, v7
	v_bfe_u32 v22, v7, 20, 11
	v_fmac_f16_e32 v18, v38, v0
	v_cndmask_b32_e64 v12, 0, 1, s0
	v_cmp_ne_u32_e64 s0, 0, v6
	v_lshl_or_b32 v19, v19, 16, v4
	v_mul_f16_sdwa v0, v38, v0 dst_sel:DWORD dst_unused:UNUSED_PAD src0_sel:WORD_1 src1_sel:DWORD
	v_cvt_f32_f16_e32 v18, v18
	v_or_b32_e32 v24, v13, v12
	v_cndmask_b32_e64 v6, 0, 1, s0
	v_cmp_gt_i32_e64 s0, 1, v21
	v_fma_f16 v0, v38, v20, -v0
	v_cvt_f64_f32_e32 v[12:13], v18
	v_and_or_b32 v6, 0xffe, v15, v6
	v_sub_nc_u32_e32 v15, 0x3f1, v22
	v_cndmask_b32_e64 v18, v25, v24, s0
	v_add_co_u32 v26, s0, s6, v10
	v_or_b32_e32 v24, 0x1000, v6
	v_med3_i32 v25, v15, 0, 13
	v_mov_b32_e32 v15, v3
	v_and_b32_e32 v3, 7, v18
	v_add_co_ci_u32_e64 v27, s0, s7, v11, s0
	v_lshrrev_b32_e32 v4, v25, v24
	v_lshlrev_b64 v[10:11], 2, v[14:15]
	v_cmp_lt_i32_e64 s0, 5, v3
	v_cmp_eq_u32_e64 s1, 3, v3
	v_lshrrev_b32_e32 v3, 2, v18
	v_lshlrev_b32_e32 v25, v25, v4
	v_add_nc_u32_e32 v18, 0xfffffc10, v22
	v_cvt_f32_f16_e32 v0, v0
	s_or_b32 s0, s1, s0
	v_mul_f64 v[12:13], v[12:13], s[4:5]
	v_cmp_ne_u32_e64 s2, v25, v24
	v_add_co_ci_u32_e64 v15, s0, 0, v3, s0
	v_cmp_ne_u32_e64 s0, 0, v8
	v_cndmask_b32_e64 v14, 0, 1, s2
	v_cndmask_b32_e64 v8, 0, 1, s0
	v_cmp_gt_i32_e64 s0, 1, v18
	v_or_b32_e32 v3, v4, v14
	v_lshl_or_b32 v4, v18, 12, v6
	v_lshl_or_b32 v8, v8, 9, 0x7c00
	v_cndmask_b32_e64 v20, v4, v3, s0
	v_cmp_gt_i32_e64 s0, 31, v21
	ds_read2_b32 v[3:4], v23 offset0:107 offset1:151
	v_and_b32_e32 v24, 7, v20
	v_cndmask_b32_e64 v22, 0x7c00, v15, s0
	v_cvt_f64_f32_e32 v[14:15], v0
	v_add_co_u32 v10, s0, v26, v10
	v_and_or_b32 v0, 0x1ff, v13, v12
	v_add_co_ci_u32_e64 v11, s0, v27, v11, s0
	v_cmp_eq_u32_e64 s0, 0x40f, v21
	v_cmp_eq_u32_e64 s1, 3, v24
	v_cmp_ne_u32_e64 s2, 0, v0
	v_lshrrev_b32_e32 v12, 2, v20
	v_lshrrev_b32_e32 v20, 8, v13
	v_cndmask_b32_e64 v8, v22, v8, s0
	v_cmp_lt_i32_e64 s0, 5, v24
	v_cndmask_b32_e64 v0, 0, 1, s2
	v_bfe_u32 v21, v13, 20, 11
	s_waitcnt lgkmcnt(0)
	v_lshrrev_b32_e32 v22, 16, v3
	global_store_dword v[10:11], v19, off
	s_or_b32 s0, s1, s0
	v_and_or_b32 v0, 0xffe, v20, v0
	v_add_co_ci_u32_e64 v12, s0, 0, v12, s0
	v_sub_nc_u32_e32 v20, 0x3f1, v21
	v_mul_f64 v[14:15], v[14:15], s[4:5]
	v_mul_f16_sdwa v24, v36, v22 dst_sel:DWORD dst_unused:UNUSED_PAD src0_sel:WORD_1 src1_sel:DWORD
	v_cmp_ne_u32_e64 s0, 0, v6
	v_or_b32_e32 v25, 0x1000, v0
	v_med3_i32 v20, v20, 0, 13
	v_and_or_b32 v8, 0x8000, v9, v8
	v_fmac_f16_e32 v24, v36, v3
	v_cndmask_b32_e64 v6, 0, 1, s0
	v_cmp_gt_i32_e64 s0, 31, v18
	v_lshrrev_b32_e32 v26, v20, v25
	s_mul_i32 s1, s9, 0x79
	v_cvt_f32_f16_e32 v24, v24
	v_lshl_or_b32 v6, v6, 9, 0x7c00
	v_cndmask_b32_e64 v12, 0x7c00, v12, s0
	v_cmp_eq_u32_e64 s0, 0x40f, v18
	v_lshlrev_b32_e32 v19, v20, v26
	v_lshrrev_b32_e32 v18, 16, v7
	s_mul_hi_u32 s2, s8, 0x79
	v_and_b32_e32 v8, 0xffff, v8
	v_cndmask_b32_e64 v12, v12, v6, s0
	v_cvt_f64_f32_e32 v[6:7], v24
	v_cmp_ne_u32_e64 s0, v19, v25
	v_and_or_b32 v14, 0x1ff, v15, v14
	v_lshrrev_b32_e32 v20, 8, v15
	v_and_or_b32 v9, 0x8000, v18, v12
	v_add_nc_u32_e32 v18, 0xfffffc10, v21
	v_cndmask_b32_e64 v12, 0, 1, s0
	v_cmp_ne_u32_e64 s0, 0, v14
	v_bfe_u32 v21, v15, 20, 11
	s_add_i32 s3, s2, s1
	v_lshl_or_b32 v19, v18, 12, v0
	v_or_b32_e32 v12, v26, v12
	v_cndmask_b32_e64 v14, 0, 1, s0
	v_cmp_gt_i32_e64 s0, 1, v18
	s_mul_i32 s2, s8, 0x79
	v_lshl_or_b32 v24, v9, 16, v8
	s_lshl_b64 s[16:17], s[2:3], 2
	v_and_or_b32 v14, 0xffe, v20, v14
	v_cndmask_b32_e64 v12, v19, v12, s0
	v_sub_nc_u32_e32 v19, 0x3f1, v21
	v_add_co_u32 v8, s2, v10, s16
	v_mul_f64 v[6:7], v[6:7], s[4:5]
	v_and_b32_e32 v20, 7, v12
	v_or_b32_e32 v25, 0x1000, v14
	v_med3_i32 v19, v19, 0, 13
	v_lshrrev_b32_e32 v12, 2, v12
	v_mul_f16_sdwa v3, v36, v3 dst_sel:DWORD dst_unused:UNUSED_PAD src0_sel:WORD_1 src1_sel:DWORD
	v_cmp_lt_i32_e64 s0, 5, v20
	v_cmp_eq_u32_e64 s1, 3, v20
	v_lshrrev_b32_e32 v20, v19, v25
	v_add_co_ci_u32_e64 v9, s2, s17, v11, s2
	v_fma_f16 v3, v36, v22, -v3
	s_or_b32 s0, s1, s0
	v_lshlrev_b32_e32 v10, v19, v20
	v_add_co_ci_u32_e64 v12, s0, 0, v12, s0
	v_add_nc_u32_e32 v19, 0xfffffc10, v21
	v_cvt_f32_f16_e32 v3, v3
	v_cmp_ne_u32_e64 s0, v10, v25
	v_lshrrev_b32_e32 v26, 16, v5
	global_store_dword v[8:9], v24, off
	v_lshl_or_b32 v21, v19, 12, v14
	v_and_or_b32 v6, 0x1ff, v7, v6
	v_cndmask_b32_e64 v10, 0, 1, s0
	v_cmp_ne_u32_e64 s0, 0, v0
	v_lshrrev_b32_e32 v22, 8, v7
	v_bfe_u32 v25, v7, 20, 11
	v_lshrrev_b32_e32 v7, 16, v7
	v_or_b32_e32 v20, v20, v10
	v_cndmask_b32_e64 v0, 0, 1, s0
	v_cmp_ne_u32_e64 s0, 0, v6
	v_cvt_f64_f32_e32 v[10:11], v3
	v_lshl_or_b32 v0, v0, 9, 0x7c00
	v_cndmask_b32_e64 v6, 0, 1, s0
	v_cmp_gt_i32_e64 s0, 1, v19
	v_cndmask_b32_e64 v3, v21, v20, s0
	v_cmp_gt_i32_e64 s0, 31, v18
	v_and_or_b32 v20, 0xffe, v22, v6
	v_sub_nc_u32_e32 v6, 0x3f1, v25
	v_and_b32_e32 v21, 7, v3
	v_cndmask_b32_e64 v12, 0x7c00, v12, s0
	v_cmp_eq_u32_e64 s0, 0x40f, v18
	v_or_b32_e32 v22, 0x1000, v20
	v_med3_i32 v6, v6, 0, 13
	v_cmp_eq_u32_e64 s1, 3, v21
	v_lshrrev_b32_e32 v3, 2, v3
	v_cndmask_b32_e64 v0, v12, v0, s0
	v_cmp_lt_i32_e64 s0, 5, v21
	v_lshrrev_b32_e32 v27, v6, v22
	v_mul_f16_sdwa v12, v35, v26 dst_sel:DWORD dst_unused:UNUSED_PAD src0_sel:WORD_1 src1_sel:DWORD
	v_mul_f64 v[10:11], v[10:11], s[4:5]
	v_lshrrev_b32_e32 v18, 16, v13
	s_or_b32 s0, s1, s0
	v_lshlrev_b32_e32 v6, v6, v27
	v_add_co_ci_u32_e64 v3, s0, 0, v3, s0
	v_cmp_ne_u32_e64 s0, 0, v14
	v_fmac_f16_e32 v12, v35, v5
	v_add_nc_u32_e32 v21, 0xfffffc10, v25
	v_and_or_b32 v0, 0x8000, v18, v0
	v_mul_f16_sdwa v5, v35, v5 dst_sel:DWORD dst_unused:UNUSED_PAD src0_sel:WORD_1 src1_sel:DWORD
	v_cndmask_b32_e64 v14, 0, 1, s0
	v_cmp_ne_u32_e64 s0, v6, v22
	v_cvt_f32_f16_e32 v12, v12
	v_lshl_or_b32 v18, v21, 12, v20
	v_and_b32_e32 v0, 0xffff, v0
	v_lshl_or_b32 v14, v14, 9, 0x7c00
	v_cndmask_b32_e64 v6, 0, 1, s0
	v_cmp_gt_i32_e64 s0, 31, v19
	v_cvt_f64_f32_e32 v[12:13], v12
	v_fma_f16 v5, v35, v26, -v5
	v_or_b32_e32 v6, v27, v6
	v_cndmask_b32_e64 v3, 0x7c00, v3, s0
	v_cmp_eq_u32_e64 s0, 0x40f, v19
	v_and_or_b32 v10, 0x1ff, v11, v10
	v_cvt_f32_f16_e32 v22, v5
	v_cndmask_b32_e64 v3, v3, v14, s0
	v_cmp_gt_i32_e64 s0, 1, v21
	v_lshrrev_b32_e32 v14, 16, v15
	v_lshrrev_b32_e32 v15, 8, v11
	v_cndmask_b32_e64 v6, v18, v6, s0
	v_cmp_ne_u32_e64 s0, 0, v10
	v_and_or_b32 v3, 0x8000, v14, v3
	v_bfe_u32 v18, v11, 20, 11
	v_and_b32_e32 v14, 7, v6
	v_cndmask_b32_e64 v10, 0, 1, s0
	v_mul_f64 v[12:13], v[12:13], s[4:5]
	v_lshl_or_b32 v0, v3, 16, v0
	v_lshrrev_b32_e32 v6, 2, v6
	v_cmp_lt_i32_e64 s0, 5, v14
	v_cmp_eq_u32_e64 s1, 3, v14
	v_and_or_b32 v3, 0xffe, v15, v10
	v_sub_nc_u32_e32 v10, 0x3f1, v18
	v_add_nc_u32_e32 v18, 0xfffffc10, v18
	s_or_b32 s0, s1, s0
	v_or_b32_e32 v14, 0x1000, v3
	v_med3_i32 v10, v10, 0, 13
	v_add_co_ci_u32_e64 v15, s0, 0, v6, s0
	v_add_co_u32 v5, s0, v8, s16
	v_add_co_ci_u32_e64 v6, s0, s17, v9, s0
	v_lshrrev_b32_e32 v19, v10, v14
	v_cmp_gt_i32_e64 s0, 31, v21
	v_cvt_f64_f32_e32 v[8:9], v22
	global_store_dword v[5:6], v0, off
	v_and_or_b32 v12, 0x1ff, v13, v12
	v_lshlrev_b32_e32 v10, v10, v19
	v_cndmask_b32_e64 v15, 0x7c00, v15, s0
	v_cmp_ne_u32_e64 s0, 0, v20
	v_bfe_u32 v22, v13, 20, 11
	v_cndmask_b32_e64 v20, 0, 1, s0
	v_cmp_ne_u32_e64 s0, v10, v14
	v_lshrrev_b32_e32 v14, 8, v13
	v_lshrrev_b32_e32 v13, 16, v13
	v_lshl_or_b32 v20, v20, 9, 0x7c00
	v_cndmask_b32_e64 v10, 0, 1, s0
	v_cmp_ne_u32_e64 s0, 0, v12
	v_or_b32_e32 v10, v19, v10
	v_cndmask_b32_e64 v12, 0, 1, s0
	v_cmp_eq_u32_e64 s0, 0x40f, v21
	v_lshl_or_b32 v19, v18, 12, v3
	v_mul_f64 v[8:9], v[8:9], s[4:5]
	v_and_or_b32 v12, 0xffe, v14, v12
	v_sub_nc_u32_e32 v14, 0x3f1, v22
	v_cndmask_b32_e64 v15, v15, v20, s0
	v_cmp_gt_i32_e64 s0, 1, v18
	v_or_b32_e32 v20, 0x1000, v12
	v_med3_i32 v14, v14, 0, 13
	v_and_or_b32 v15, 0x8000, v7, v15
	v_cndmask_b32_e64 v10, v19, v10, s0
	v_lshrrev_b32_e32 v19, 16, v2
	v_lshrrev_b32_e32 v21, v14, v20
	v_and_b32_e32 v15, 0xffff, v15
	v_and_b32_e32 v24, 7, v10
	v_mul_f16_sdwa v0, v34, v19 dst_sel:DWORD dst_unused:UNUSED_PAD src0_sel:WORD_1 src1_sel:DWORD
	v_lshrrev_b32_e32 v10, 2, v10
	v_lshlrev_b32_e32 v7, v14, v21
	v_add_nc_u32_e32 v14, 0xfffffc10, v22
	v_cmp_lt_i32_e64 s0, 5, v24
	v_cmp_eq_u32_e64 s1, 3, v24
	v_fmac_f16_e32 v0, v34, v2
	v_cmp_ne_u32_e64 s2, v7, v20
	v_and_or_b32 v22, 0x1ff, v9, v8
	s_or_b32 s0, s1, s0
	v_cvt_f32_f16_e32 v0, v0
	v_add_co_ci_u32_e64 v10, s0, 0, v10, s0
	v_cndmask_b32_e64 v7, 0, 1, s2
	v_cmp_ne_u32_e64 s0, 0, v3
	s_mul_hi_u32 s2, s8, 0xfffffec1
	v_or_b32_e32 v20, v21, v7
	v_lshl_or_b32 v21, v14, 12, v12
	v_cvt_f64_f32_e32 v[7:8], v0
	v_cndmask_b32_e64 v0, 0, 1, s0
	v_cmp_gt_i32_e64 s0, 1, v14
	v_lshl_or_b32 v0, v0, 9, 0x7c00
	v_cndmask_b32_e64 v3, v21, v20, s0
	v_cmp_ne_u32_e64 s0, 0, v22
	v_lshrrev_b32_e32 v21, 8, v9
	v_bfe_u32 v22, v9, 20, 11
	v_and_b32_e32 v24, 7, v3
	v_cndmask_b32_e64 v20, 0, 1, s0
	v_cmp_gt_i32_e64 s0, 31, v18
	v_lshrrev_b32_e32 v3, 2, v3
	v_cmp_eq_u32_e64 s1, 3, v24
	v_and_or_b32 v20, 0xffe, v21, v20
	v_cndmask_b32_e64 v10, 0x7c00, v10, s0
	v_sub_nc_u32_e32 v21, 0x3f1, v22
	v_cmp_eq_u32_e64 s0, 0x40f, v18
	v_mul_f64 v[7:8], v[7:8], s[4:5]
	v_med3_i32 v18, v21, 0, 13
	v_cndmask_b32_e64 v0, v10, v0, s0
	v_lshrrev_b32_e32 v10, 16, v11
	v_or_b32_e32 v11, 0x1000, v20
	v_cmp_lt_i32_e64 s0, 5, v24
	v_and_or_b32 v0, 0x8000, v10, v0
	v_lshrrev_b32_e32 v10, v18, v11
	s_or_b32 s0, s1, s0
	v_add_co_ci_u32_e64 v3, s0, 0, v3, s0
	v_lshlrev_b32_e32 v18, v18, v10
	v_cmp_gt_i32_e64 s0, 31, v14
	v_lshl_or_b32 v15, v0, 16, v15
	v_mul_f16_sdwa v0, v34, v2 dst_sel:DWORD dst_unused:UNUSED_PAD src0_sel:WORD_1 src1_sel:DWORD
	v_cndmask_b32_e64 v21, 0x7c00, v3, s0
	v_cmp_ne_u32_e64 s0, v18, v11
	v_add_nc_u32_e32 v11, 0xfffffc10, v22
	v_fma_f16 v0, v34, v19, -v0
	v_and_or_b32 v7, 0x1ff, v8, v7
	v_bfe_u32 v18, v8, 20, 11
	v_cndmask_b32_e64 v2, 0, 1, s0
	v_cmp_ne_u32_e64 s0, 0, v12
	v_cvt_f32_f16_e32 v0, v0
	v_or_b32_e32 v2, v10, v2
	v_cndmask_b32_e64 v3, 0, 1, s0
	v_lshl_or_b32 v10, v11, 12, v20
	v_cmp_gt_i32_e64 s0, 1, v11
	v_lshl_or_b32 v12, v3, 9, 0x7c00
	v_cndmask_b32_e64 v10, v10, v2, s0
	v_cvt_f64_f32_e32 v[2:3], v0
	v_cmp_ne_u32_e64 s0, 0, v7
	v_lshrrev_b32_e32 v7, 8, v8
	v_and_b32_e32 v19, 7, v10
	v_lshrrev_b32_e32 v10, 2, v10
	v_cndmask_b32_e64 v0, 0, 1, s0
	v_cmp_eq_u32_e64 s0, 0x40f, v14
	v_cmp_eq_u32_e64 s1, 3, v19
	v_and_or_b32 v0, 0xffe, v7, v0
	v_cndmask_b32_e64 v12, v21, v12, s0
	v_cmp_lt_i32_e64 s0, 5, v19
	v_sub_nc_u32_e32 v7, 0x3f1, v18
	v_lshrrev_b32_e32 v19, 16, v1
	v_or_b32_e32 v14, 0x1000, v0
	v_and_or_b32 v12, 0x8000, v13, v12
	s_or_b32 s0, s1, s0
	v_med3_i32 v7, v7, 0, 13
	v_add_co_ci_u32_e64 v10, s0, 0, v10, s0
	v_cmp_ne_u32_e64 s0, 0, v20
	v_mul_f64 v[2:3], v[2:3], s[4:5]
	v_lshrrev_b32_e32 v21, v7, v14
	v_mul_f16_sdwa v22, v33, v19 dst_sel:DWORD dst_unused:UNUSED_PAD src0_sel:WORD_1 src1_sel:DWORD
	s_mul_i32 s1, s9, 0xfffffec1
	v_cndmask_b32_e64 v20, 0, 1, s0
	v_cmp_gt_i32_e64 s0, 31, v11
	v_lshlrev_b32_e32 v7, v7, v21
	v_fmac_f16_e32 v22, v33, v1
	v_and_b32_e32 v12, 0xffff, v12
	v_lshl_or_b32 v20, v20, 9, 0x7c00
	v_cndmask_b32_e64 v10, 0x7c00, v10, s0
	v_cmp_eq_u32_e64 s0, 0x40f, v11
	v_mul_f16_sdwa v1, v33, v1 dst_sel:DWORD dst_unused:UNUSED_PAD src0_sel:WORD_1 src1_sel:DWORD
	v_cndmask_b32_e64 v11, v10, v20, s0
	v_cmp_ne_u32_e64 s0, v7, v14
	v_cvt_f32_f16_e32 v10, v22
	v_add_nc_u32_e32 v14, 0xfffffc10, v18
	v_lshrrev_b32_e32 v20, 16, v9
	v_fma_f16 v1, v33, v19, -v1
	v_cndmask_b32_e64 v7, 0, 1, s0
	v_cvt_f64_f32_e32 v[9:10], v10
	v_add_co_u32 v5, s0, v5, s16
	v_add_co_ci_u32_e64 v6, s0, s17, v6, s0
	v_or_b32_e32 v7, v21, v7
	v_lshl_or_b32 v13, v14, 12, v0
	v_and_or_b32 v2, 0x1ff, v3, v2
	v_cmp_gt_i32_e64 s0, 1, v14
	v_bfe_u32 v18, v3, 20, 11
	v_and_or_b32 v11, 0x8000, v20, v11
	v_lshrrev_b32_e32 v19, 16, v4
	v_cndmask_b32_e64 v7, v13, v7, s0
	v_cmp_ne_u32_e64 s0, 0, v2
	v_lshrrev_b32_e32 v13, 8, v3
	v_mul_f16_sdwa v25, v32, v19 dst_sel:DWORD dst_unused:UNUSED_PAD src0_sel:WORD_1 src1_sel:DWORD
	v_and_b32_e32 v20, 7, v7
	v_cndmask_b32_e64 v2, 0, 1, s0
	s_sub_i32 s0, s2, s8
	v_lshrrev_b32_e32 v7, 2, v7
	s_add_i32 s3, s0, s1
	v_cmp_lt_i32_e64 s0, 5, v20
	v_and_or_b32 v2, 0xffe, v13, v2
	v_sub_nc_u32_e32 v13, 0x3f1, v18
	v_cmp_eq_u32_e64 s1, 3, v20
	v_mul_f64 v[9:10], v[9:10], s[4:5]
	v_lshl_or_b32 v20, v11, 16, v12
	v_or_b32_e32 v21, 0x1000, v2
	v_med3_i32 v13, v13, 0, 13
	s_or_b32 s0, s1, s0
	s_mul_i32 s2, s8, 0xfffffec1
	v_add_co_ci_u32_e64 v7, s0, 0, v7, s0
	v_lshrrev_b32_e32 v11, v13, v21
	v_cmp_ne_u32_e64 s0, 0, v0
	s_lshl_b64 s[6:7], s[2:3], 2
	v_fmac_f16_e32 v25, v32, v4
	v_mul_f16_sdwa v4, v32, v4 dst_sel:DWORD dst_unused:UNUSED_PAD src0_sel:WORD_1 src1_sel:DWORD
	v_lshlrev_b32_e32 v12, v13, v11
	v_cndmask_b32_e64 v0, 0, 1, s0
	v_cmp_gt_i32_e64 s0, 31, v14
	v_add_nc_u32_e32 v13, 0xfffffc10, v18
	v_fma_f16 v4, v32, v19, -v4
	v_lshl_or_b32 v0, v0, 9, 0x7c00
	v_cndmask_b32_e64 v7, 0x7c00, v7, s0
	v_cmp_ne_u32_e64 s0, v12, v21
	v_and_or_b32 v9, 0x1ff, v10, v9
	v_bfe_u32 v18, v10, 20, 11
	v_cvt_f32_f16_e32 v4, v4
	v_cndmask_b32_e64 v12, 0, 1, s0
	v_cmp_eq_u32_e64 s0, 0x40f, v14
	v_cndmask_b32_e64 v14, v7, v0, s0
	v_cmp_ne_u32_e64 s0, 0, v9
	v_cvt_f32_f16_e32 v0, v1
	v_or_b32_e32 v7, v11, v12
	v_lshl_or_b32 v11, v13, 12, v2
	v_lshrrev_b32_e32 v12, 8, v10
	v_cndmask_b32_e64 v9, 0, 1, s0
	v_cmp_gt_i32_e64 s0, 1, v13
	v_cvt_f64_f32_e32 v[0:1], v0
	v_lshrrev_b32_e32 v10, 16, v10
	v_and_or_b32 v9, 0xffe, v12, v9
	v_cndmask_b32_e64 v11, v11, v7, s0
	v_sub_nc_u32_e32 v7, 0x3f1, v18
	v_lshrrev_b32_e32 v12, 16, v8
	v_add_nc_u32_e32 v18, 0xfffffc10, v18
	v_or_b32_e32 v22, 0x1000, v9
	v_and_b32_e32 v21, 7, v11
	v_med3_i32 v24, v7, 0, 13
	v_add_co_u32 v7, s0, v5, s6
	v_add_co_ci_u32_e64 v8, s0, s7, v6, s0
	v_lshrrev_b32_e32 v26, v24, v22
	v_cmp_lt_i32_e64 s0, 5, v21
	v_cmp_eq_u32_e64 s1, 3, v21
	v_lshrrev_b32_e32 v11, 2, v11
	v_and_or_b32 v14, 0x8000, v12, v14
	v_lshlrev_b32_e32 v21, v24, v26
	v_cvt_f32_f16_e32 v12, v25
	s_or_b32 s0, s1, s0
	v_mul_f64 v[0:1], v[0:1], s[4:5]
	v_add_co_ci_u32_e64 v24, s0, 0, v11, s0
	v_cmp_ne_u32_e64 s0, v21, v22
	v_cvt_f64_f32_e32 v[11:12], v12
	v_lshl_or_b32 v22, v18, 12, v9
	v_and_b32_e32 v14, 0xffff, v14
	v_cndmask_b32_e64 v21, 0, 1, s0
	v_cmp_ne_u32_e64 s0, 0, v2
	v_or_b32_e32 v21, v26, v21
	v_cndmask_b32_e64 v2, 0, 1, s0
	v_cmp_gt_i32_e64 s0, 31, v13
	v_lshl_or_b32 v2, v2, 9, 0x7c00
	v_cndmask_b32_e64 v19, 0x7c00, v24, s0
	v_cmp_gt_i32_e64 s0, 1, v18
	v_and_or_b32 v0, 0x1ff, v1, v0
	v_bfe_u32 v24, v1, 20, 11
	v_cndmask_b32_e64 v21, v22, v21, s0
	v_cmp_eq_u32_e64 s0, 0x40f, v13
	v_mul_f64 v[11:12], v[11:12], s[4:5]
	v_lshrrev_b32_e32 v22, 8, v1
	v_lshrrev_b32_e32 v1, 16, v1
	v_cndmask_b32_e64 v13, v19, v2, s0
	v_lshrrev_b32_e32 v19, 16, v3
	v_cvt_f64_f32_e32 v[2:3], v4
	v_cmp_ne_u32_e64 s0, 0, v0
	v_and_b32_e32 v4, 7, v21
	v_and_or_b32 v13, 0x8000, v19, v13
	v_sub_nc_u32_e32 v19, 0x3f1, v24
	v_cndmask_b32_e64 v0, 0, 1, s0
	v_cmp_lt_i32_e64 s0, 5, v4
	v_cmp_eq_u32_e64 s1, 3, v4
	v_lshl_or_b32 v4, v13, 16, v14
	v_lshrrev_b32_e32 v13, 2, v21
	v_and_or_b32 v0, 0xffe, v22, v0
	v_med3_i32 v19, v19, 0, 13
	s_or_b32 s0, s1, s0
	v_add_co_ci_u32_e64 v13, s0, 0, v13, s0
	v_or_b32_e32 v14, 0x1000, v0
	v_cmp_ne_u32_e64 s0, 0, v9
	v_and_or_b32 v11, 0x1ff, v12, v11
	v_lshrrev_b32_e32 v22, 8, v12
	v_bfe_u32 v25, v12, 20, 11
	v_lshrrev_b32_e32 v21, v19, v14
	v_cndmask_b32_e64 v9, 0, 1, s0
	v_cmp_gt_i32_e64 s0, 31, v18
	v_mul_f64 v[2:3], v[2:3], s[4:5]
	v_lshrrev_b32_e32 v12, 16, v12
	v_lshlrev_b32_e32 v19, v19, v21
	v_lshl_or_b32 v9, v9, 9, 0x7c00
	v_cndmask_b32_e64 v13, 0x7c00, v13, s0
	v_cmp_ne_u32_e64 s0, 0, v11
	v_cndmask_b32_e64 v11, 0, 1, s0
	v_cmp_ne_u32_e64 s0, v19, v14
	v_add_nc_u32_e32 v19, 0xfffffc10, v24
	v_and_or_b32 v11, 0xffe, v22, v11
	v_cndmask_b32_e64 v14, 0, 1, s0
	v_sub_nc_u32_e32 v22, 0x3f1, v25
	v_cmp_eq_u32_e64 s0, 0x40f, v18
	v_or_b32_e32 v18, 0x1000, v11
	v_and_or_b32 v2, 0x1ff, v3, v2
	v_cndmask_b32_e64 v9, v13, v9, s0
	v_or_b32_e32 v13, v21, v14
	v_lshl_or_b32 v14, v19, 12, v0
	v_med3_i32 v21, v22, 0, 13
	v_cmp_gt_i32_e64 s0, 1, v19
	v_lshrrev_b32_e32 v22, 8, v3
	v_bfe_u32 v24, v3, 20, 11
	v_and_or_b32 v9, 0x8000, v10, v9
	v_cndmask_b32_e64 v13, v14, v13, s0
	v_lshrrev_b32_e32 v14, v21, v18
	v_cmp_ne_u32_e64 s0, 0, v2
	v_sub_nc_u32_e32 v10, 0x3f1, v24
	v_and_b32_e32 v26, 7, v13
	v_lshlrev_b32_e32 v21, v21, v14
	v_cndmask_b32_e64 v2, 0, 1, s0
	v_lshrrev_b32_e32 v13, 2, v13
	v_med3_i32 v10, v10, 0, 13
	v_cmp_lt_i32_e64 s0, 5, v26
	v_cmp_ne_u32_e64 s1, v21, v18
	v_and_or_b32 v2, 0xffe, v22, v2
	v_add_nc_u32_e32 v22, 0xfffffc10, v25
	v_cndmask_b32_e64 v18, 0, 1, s1
	v_cmp_eq_u32_e64 s1, 3, v26
	v_or_b32_e32 v21, 0x1000, v2
	v_lshl_or_b32 v25, v22, 12, v11
	v_or_b32_e32 v14, v14, v18
	s_or_b32 s0, s1, s0
	v_lshrrev_b32_e32 v18, v10, v21
	v_add_co_ci_u32_e64 v13, s0, 0, v13, s0
	v_cmp_gt_i32_e64 s0, 1, v22
	v_lshlrev_b32_e32 v10, v10, v18
	v_cndmask_b32_e64 v14, v25, v14, s0
	v_cmp_ne_u32_e64 s0, 0, v0
	v_cndmask_b32_e64 v0, 0, 1, s0
	v_cmp_ne_u32_e64 s0, v10, v21
	v_add_nc_u32_e32 v21, 0xfffffc10, v24
	v_and_b32_e32 v24, 7, v14
	v_lshl_or_b32 v0, v0, 9, 0x7c00
	v_cndmask_b32_e64 v10, 0, 1, s0
	v_cmp_gt_i32_e64 s0, 31, v19
	v_cmp_gt_i32_e64 s2, 1, v21
	v_cmp_eq_u32_e64 s1, 3, v24
	v_or_b32_e32 v10, v18, v10
	v_lshl_or_b32 v18, v21, 12, v2
	v_cndmask_b32_e64 v13, 0x7c00, v13, s0
	v_cmp_lt_i32_e64 s0, 5, v24
	v_cndmask_b32_e64 v10, v18, v10, s2
	v_cmp_eq_u32_e64 s2, 0x40f, v19
	s_or_b32 s0, s1, s0
	v_cndmask_b32_e64 v0, v13, v0, s2
	v_lshrrev_b32_e32 v13, 2, v14
	v_and_b32_e32 v14, 7, v10
	v_lshrrev_b32_e32 v10, 2, v10
	v_cmp_gt_i32_e64 s2, 31, v22
	v_and_or_b32 v0, 0x8000, v1, v0
	v_add_co_ci_u32_e64 v13, s0, 0, v13, s0
	v_cmp_ne_u32_e64 s0, 0, v11
	v_cmp_eq_u32_e64 s1, 3, v14
	v_and_b32_e32 v1, 0xffff, v9
	v_cndmask_b32_e64 v13, 0x7c00, v13, s2
	v_cndmask_b32_e64 v11, 0, 1, s0
	v_cmp_lt_i32_e64 s0, 5, v14
	v_lshl_or_b32 v11, v11, 9, 0x7c00
	s_or_b32 s0, s1, s0
	v_add_co_ci_u32_e64 v10, s0, 0, v10, s0
	v_cmp_ne_u32_e64 s0, 0, v2
	v_cndmask_b32_e64 v2, 0, 1, s0
	v_cmp_eq_u32_e64 s0, 0x40f, v22
	v_lshl_or_b32 v2, v2, 9, 0x7c00
	v_cndmask_b32_e64 v11, v13, v11, s0
	v_cmp_gt_i32_e64 s0, 31, v21
	v_and_or_b32 v9, 0x8000, v12, v11
	v_cndmask_b32_e64 v10, 0x7c00, v10, s0
	v_cmp_eq_u32_e64 s0, 0x40f, v21
	v_lshrrev_b32_e32 v11, 16, v3
	v_lshl_or_b32 v12, v0, 16, v1
	v_and_b32_e32 v1, 0xffff, v9
	v_cndmask_b32_e64 v10, v10, v2, s0
	v_add_co_u32 v2, s0, v7, s16
	v_add_co_ci_u32_e64 v3, s0, s17, v8, s0
	v_and_or_b32 v0, 0x8000, v11, v10
	v_add_co_u32 v9, s0, v2, s16
	v_add_co_ci_u32_e64 v10, s0, s17, v3, s0
	v_lshl_or_b32 v11, v0, 16, v1
	v_add_co_u32 v0, s0, v9, s16
	v_add_co_ci_u32_e64 v1, s0, s17, v10, s0
	global_store_dword v[5:6], v15, off
	global_store_dword v[7:8], v20, off
	;; [unrolled: 1-line block ×5, first 2 shown]
	s_and_b32 exec_lo, exec_lo, vcc_lo
	s_cbranch_execz .LBB0_15
; %bb.14:
	s_clause 0x3
	global_load_dword v6, v[16:17], off offset:352
	global_load_dword v7, v[16:17], off offset:836
	;; [unrolled: 1-line block ×4, first 2 shown]
	ds_read2_b32 v[2:3], v31 offset0:88 offset1:209
	ds_read2_b32 v[4:5], v23 offset0:74 offset1:195
	v_add_co_u32 v0, vcc_lo, v0, s6
	v_add_co_ci_u32_e32 v1, vcc_lo, s7, v1, vcc_lo
	v_add_co_u32 v18, vcc_lo, v0, s16
	v_add_co_ci_u32_e32 v19, vcc_lo, s17, v1, vcc_lo
	;; [unrolled: 2-line block ×3, first 2 shown]
	s_waitcnt lgkmcnt(1)
	v_lshrrev_b32_e32 v9, 16, v2
	v_lshrrev_b32_e32 v10, 16, v3
	s_waitcnt lgkmcnt(0)
	v_lshrrev_b32_e32 v13, 16, v4
	v_lshrrev_b32_e32 v14, 16, v5
	s_waitcnt vmcnt(3)
	v_mul_f16_sdwa v11, v9, v6 dst_sel:DWORD dst_unused:UNUSED_PAD src0_sel:DWORD src1_sel:WORD_1
	v_mul_f16_sdwa v15, v2, v6 dst_sel:DWORD dst_unused:UNUSED_PAD src0_sel:DWORD src1_sel:WORD_1
	s_waitcnt vmcnt(2)
	v_mul_f16_sdwa v16, v10, v7 dst_sel:DWORD dst_unused:UNUSED_PAD src0_sel:DWORD src1_sel:WORD_1
	s_waitcnt vmcnt(1)
	v_mul_f16_sdwa v17, v13, v8 dst_sel:DWORD dst_unused:UNUSED_PAD src0_sel:DWORD src1_sel:WORD_1
	v_fmac_f16_e32 v11, v2, v6
	v_mul_f16_sdwa v2, v3, v7 dst_sel:DWORD dst_unused:UNUSED_PAD src0_sel:DWORD src1_sel:WORD_1
	v_fma_f16 v6, v6, v9, -v15
	v_fmac_f16_e32 v16, v3, v7
	v_mul_f16_sdwa v9, v4, v8 dst_sel:DWORD dst_unused:UNUSED_PAD src0_sel:DWORD src1_sel:WORD_1
	v_cvt_f32_f16_e32 v11, v11
	v_fma_f16 v10, v7, v10, -v2
	v_cvt_f32_f16_e32 v6, v6
	v_fmac_f16_e32 v17, v4, v8
	v_cvt_f32_f16_e32 v4, v16
	v_cvt_f64_f32_e32 v[2:3], v11
	v_cvt_f32_f16_e32 v10, v10
	v_cvt_f64_f32_e32 v[6:7], v6
	v_fma_f16 v13, v8, v13, -v9
	v_cvt_f64_f32_e32 v[8:9], v4
	s_waitcnt vmcnt(0)
	v_mul_f16_sdwa v15, v14, v12 dst_sel:DWORD dst_unused:UNUSED_PAD src0_sel:DWORD src1_sel:WORD_1
	v_mul_f16_sdwa v16, v5, v12 dst_sel:DWORD dst_unused:UNUSED_PAD src0_sel:DWORD src1_sel:WORD_1
	v_cvt_f32_f16_e32 v17, v17
	v_cvt_f64_f32_e32 v[10:11], v10
	v_cvt_f32_f16_e32 v13, v13
	v_fmac_f16_e32 v15, v5, v12
	v_fma_f16 v12, v12, v14, -v16
	v_cvt_f64_f32_e32 v[4:5], v17
	v_cvt_f32_f16_e32 v14, v15
	v_cvt_f32_f16_e32 v16, v12
	v_cvt_f64_f32_e32 v[12:13], v13
	v_cvt_f64_f32_e32 v[14:15], v14
	v_cvt_f64_f32_e32 v[16:17], v16
	v_mul_f64 v[2:3], v[2:3], s[4:5]
	v_mul_f64 v[6:7], v[6:7], s[4:5]
	;; [unrolled: 1-line block ×8, first 2 shown]
	v_and_or_b32 v2, 0x1ff, v3, v2
	v_lshrrev_b32_e32 v22, 8, v3
	v_and_or_b32 v6, 0x1ff, v7, v6
	v_bfe_u32 v23, v3, 20, 11
	v_and_or_b32 v8, 0x1ff, v9, v8
	v_cmp_ne_u32_e32 vcc_lo, 0, v2
	v_lshrrev_b32_e32 v24, 8, v7
	v_bfe_u32 v25, v7, 20, 11
	v_and_or_b32 v10, 0x1ff, v11, v10
	v_lshrrev_b32_e32 v26, 8, v9
	v_cndmask_b32_e64 v2, 0, 1, vcc_lo
	v_cmp_ne_u32_e32 vcc_lo, 0, v6
	v_and_or_b32 v4, 0x1ff, v5, v4
	v_bfe_u32 v27, v9, 20, 11
	v_bfe_u32 v29, v11, 20, 11
	v_and_or_b32 v2, 0xffe, v22, v2
	v_cndmask_b32_e64 v6, 0, 1, vcc_lo
	v_cmp_ne_u32_e32 vcc_lo, 0, v8
	v_and_or_b32 v12, 0x1ff, v13, v12
	v_sub_nc_u32_e32 v38, 0x3f1, v23
	v_and_or_b32 v14, 0x1ff, v15, v14
	v_and_or_b32 v16, 0x1ff, v17, v16
	v_cndmask_b32_e64 v8, 0, 1, vcc_lo
	v_cmp_ne_u32_e32 vcc_lo, 0, v10
	v_add_nc_u32_e32 v23, 0xfffffc10, v23
	v_sub_nc_u32_e32 v39, 0x3f1, v25
	v_and_or_b32 v6, 0xffe, v24, v6
	v_lshrrev_b32_e32 v28, 8, v11
	v_cndmask_b32_e64 v10, 0, 1, vcc_lo
	v_cmp_ne_u32_e32 vcc_lo, 0, v4
	v_bfe_u32 v31, v5, 20, 11
	v_bfe_u32 v33, v13, 20, 11
	v_add_nc_u32_e32 v25, 0xfffffc10, v25
	v_sub_nc_u32_e32 v40, 0x3f1, v27
	v_cndmask_b32_e64 v4, 0, 1, vcc_lo
	v_cmp_ne_u32_e32 vcc_lo, 0, v12
	v_sub_nc_u32_e32 v41, 0x3f1, v29
	v_med3_i32 v22, v38, 0, 13
	v_med3_i32 v24, v39, 0, 13
	v_and_or_b32 v8, 0xffe, v26, v8
	v_cndmask_b32_e64 v12, 0, 1, vcc_lo
	v_cmp_ne_u32_e32 vcc_lo, 0, v14
	v_or_b32_e32 v38, 0x1000, v2
	v_lshl_or_b32 v39, v23, 12, v2
	v_lshrrev_b32_e32 v30, 8, v5
	v_lshrrev_b32_e32 v32, 8, v13
	v_cndmask_b32_e64 v14, 0, 1, vcc_lo
	v_cmp_ne_u32_e32 vcc_lo, 0, v16
	v_bfe_u32 v35, v15, 20, 11
	v_bfe_u32 v37, v17, 20, 11
	v_add_nc_u32_e32 v27, 0xfffffc10, v27
	v_sub_nc_u32_e32 v42, 0x3f1, v31
	v_cndmask_b32_e64 v16, 0, 1, vcc_lo
	v_cmp_ne_u32_e32 vcc_lo, 0, v2
	v_sub_nc_u32_e32 v43, 0x3f1, v33
	v_med3_i32 v26, v40, 0, 13
	v_and_or_b32 v10, 0xffe, v28, v10
	v_med3_i32 v28, v41, 0, 13
	v_cndmask_b32_e64 v2, 0, 1, vcc_lo
	v_cmp_ne_u32_e32 vcc_lo, 0, v6
	v_or_b32_e32 v40, 0x1000, v6
	v_lshl_or_b32 v41, v25, 12, v6
	v_lshrrev_b32_e32 v34, 8, v15
	v_lshrrev_b32_e32 v36, 8, v17
	v_cndmask_b32_e64 v6, 0, 1, vcc_lo
	v_cmp_ne_u32_e32 vcc_lo, 0, v8
	v_add_nc_u32_e32 v29, 0xfffffc10, v29
	v_sub_nc_u32_e32 v44, 0x3f1, v35
	v_sub_nc_u32_e32 v45, 0x3f1, v37
	v_and_or_b32 v4, 0xffe, v30, v4
	v_med3_i32 v30, v42, 0, 13
	v_and_or_b32 v12, 0xffe, v32, v12
	v_med3_i32 v32, v43, 0, 13
	v_or_b32_e32 v42, 0x1000, v8
	v_lshl_or_b32 v43, v27, 12, v8
	v_cndmask_b32_e64 v8, 0, 1, vcc_lo
	v_cmp_ne_u32_e32 vcc_lo, 0, v10
	v_add_nc_u32_e32 v31, 0xfffffc10, v31
	v_and_or_b32 v14, 0xffe, v34, v14
	v_med3_i32 v34, v44, 0, 13
	v_and_or_b32 v16, 0xffe, v36, v16
	v_med3_i32 v36, v45, 0, 13
	v_or_b32_e32 v44, 0x1000, v10
	v_lshl_or_b32 v45, v29, 12, v10
	v_cndmask_b32_e64 v10, 0, 1, vcc_lo
	v_cmp_ne_u32_e32 vcc_lo, 0, v4
	v_add_nc_u32_e32 v33, 0xfffffc10, v33
	v_or_b32_e32 v46, 0x1000, v4
	v_lshl_or_b32 v47, v31, 12, v4
	v_add_nc_u32_e32 v35, 0xfffffc10, v35
	v_cndmask_b32_e64 v4, 0, 1, vcc_lo
	v_cmp_ne_u32_e32 vcc_lo, 0, v12
	v_or_b32_e32 v48, 0x1000, v12
	v_lshl_or_b32 v49, v33, 12, v12
	v_lshrrev_b32_e32 v54, v22, v38
	v_add_nc_u32_e32 v37, 0xfffffc10, v37
	v_cndmask_b32_e64 v12, 0, 1, vcc_lo
	v_cmp_ne_u32_e32 vcc_lo, 0, v14
	v_or_b32_e32 v50, 0x1000, v14
	v_lshl_or_b32 v51, v35, 12, v14
	v_lshrrev_b32_e32 v55, v24, v40
	v_lshlrev_b32_e32 v22, v22, v54
	v_cndmask_b32_e64 v14, 0, 1, vcc_lo
	v_cmp_ne_u32_e32 vcc_lo, 0, v16
	v_or_b32_e32 v52, 0x1000, v16
	v_lshl_or_b32 v53, v37, 12, v16
	v_lshrrev_b32_e32 v56, v26, v42
	v_lshlrev_b32_e32 v24, v24, v55
	v_cndmask_b32_e64 v16, 0, 1, vcc_lo
	v_cmp_ne_u32_e32 vcc_lo, v22, v38
	v_lshrrev_b32_e32 v57, v28, v44
	v_lshlrev_b32_e32 v26, v26, v56
	v_lshrrev_b32_e32 v58, v30, v46
	v_lshrrev_b32_e32 v59, v32, v48
	v_cndmask_b32_e64 v22, 0, 1, vcc_lo
	v_cmp_ne_u32_e32 vcc_lo, v24, v40
	v_lshlrev_b32_e32 v28, v28, v57
	v_lshlrev_b32_e32 v30, v30, v58
	v_lshrrev_b32_e32 v60, v34, v50
	v_lshlrev_b32_e32 v32, v32, v59
	v_cndmask_b32_e64 v24, 0, 1, vcc_lo
	v_cmp_ne_u32_e32 vcc_lo, v26, v42
	v_lshrrev_b32_e32 v61, v36, v52
	v_lshlrev_b32_e32 v34, v34, v60
	v_or_b32_e32 v22, v54, v22
	v_or_b32_e32 v24, v55, v24
	v_cndmask_b32_e64 v26, 0, 1, vcc_lo
	v_cmp_ne_u32_e32 vcc_lo, v28, v44
	v_lshlrev_b32_e32 v36, v36, v61
	v_lshl_or_b32 v2, v2, 9, 0x7c00
	v_lshl_or_b32 v6, v6, 9, 0x7c00
	v_or_b32_e32 v26, v56, v26
	v_cndmask_b32_e64 v28, 0, 1, vcc_lo
	v_cmp_ne_u32_e32 vcc_lo, v30, v46
	v_lshl_or_b32 v8, v8, 9, 0x7c00
	v_lshl_or_b32 v10, v10, 9, 0x7c00
	;; [unrolled: 1-line block ×3, first 2 shown]
	v_or_b32_e32 v28, v57, v28
	v_cndmask_b32_e64 v30, 0, 1, vcc_lo
	v_cmp_ne_u32_e32 vcc_lo, v32, v48
	v_lshl_or_b32 v12, v12, 9, 0x7c00
	v_lshl_or_b32 v14, v14, 9, 0x7c00
	v_lshrrev_b32_e32 v3, 16, v3
	v_or_b32_e32 v30, v58, v30
	v_cndmask_b32_e64 v32, 0, 1, vcc_lo
	v_cmp_ne_u32_e32 vcc_lo, v34, v50
	v_lshrrev_b32_e32 v9, 16, v9
	v_lshrrev_b32_e32 v5, 16, v5
	;; [unrolled: 1-line block ×3, first 2 shown]
	v_or_b32_e32 v32, v59, v32
	v_cndmask_b32_e64 v34, 0, 1, vcc_lo
	v_cmp_ne_u32_e32 vcc_lo, v36, v52
	v_lshl_or_b32 v16, v16, 9, 0x7c00
	v_lshrrev_b32_e32 v7, 16, v7
	v_lshrrev_b32_e32 v11, 16, v11
	v_or_b32_e32 v34, v60, v34
	v_cndmask_b32_e64 v36, 0, 1, vcc_lo
	v_cmp_gt_i32_e32 vcc_lo, 1, v23
	v_lshrrev_b32_e32 v13, 16, v13
	v_lshrrev_b32_e32 v17, 16, v17
	v_or_b32_e32 v36, v61, v36
	v_cndmask_b32_e32 v22, v39, v22, vcc_lo
	v_cmp_gt_i32_e32 vcc_lo, 1, v25
	v_and_b32_e32 v38, 7, v22
	v_cndmask_b32_e32 v24, v41, v24, vcc_lo
	v_cmp_gt_i32_e32 vcc_lo, 1, v27
	v_lshrrev_b32_e32 v22, 2, v22
	v_cmp_eq_u32_e64 s0, 3, v38
	v_and_b32_e32 v39, 7, v24
	v_cndmask_b32_e32 v26, v43, v26, vcc_lo
	v_cmp_gt_i32_e32 vcc_lo, 1, v29
	v_lshrrev_b32_e32 v24, 2, v24
	v_cmp_lt_i32_e64 s1, 5, v39
	v_and_b32_e32 v40, 7, v26
	v_cndmask_b32_e32 v28, v45, v28, vcc_lo
	v_cmp_gt_i32_e32 vcc_lo, 1, v31
	v_cmp_eq_u32_e64 s2, 3, v39
	v_lshrrev_b32_e32 v26, 2, v26
	v_cmp_lt_i32_e64 s3, 5, v40
	v_and_b32_e32 v41, 7, v28
	v_cndmask_b32_e32 v30, v47, v30, vcc_lo
	v_cmp_gt_i32_e32 vcc_lo, 1, v33
	v_cmp_eq_u32_e64 s4, 3, v40
	;; [unrolled: 6-line block ×4, first 2 shown]
	v_lshrrev_b32_e32 v32, 2, v32
	v_cmp_lt_i32_e64 s9, 5, v43
	v_and_b32_e32 v44, 7, v34
	v_cndmask_b32_e32 v36, v53, v36, vcc_lo
	v_cmp_lt_i32_e32 vcc_lo, 5, v38
	v_cmp_eq_u32_e64 s10, 3, v43
	v_lshrrev_b32_e32 v34, 2, v34
	v_cmp_lt_i32_e64 s11, 5, v44
	v_and_b32_e32 v45, 7, v36
	s_or_b32 vcc_lo, s0, vcc_lo
	v_cmp_eq_u32_e64 s12, 3, v44
	v_add_co_ci_u32_e32 v22, vcc_lo, 0, v22, vcc_lo
	s_or_b32 vcc_lo, s2, s1
	v_cmp_lt_i32_e64 s13, 5, v45
	v_add_co_ci_u32_e32 v24, vcc_lo, 0, v24, vcc_lo
	s_or_b32 vcc_lo, s4, s3
	v_cmp_eq_u32_e64 s14, 3, v45
	v_add_co_ci_u32_e32 v26, vcc_lo, 0, v26, vcc_lo
	s_or_b32 vcc_lo, s6, s5
	v_lshrrev_b32_e32 v36, 2, v36
	v_add_co_ci_u32_e32 v28, vcc_lo, 0, v28, vcc_lo
	s_or_b32 vcc_lo, s8, s7
	v_add_co_ci_u32_e32 v30, vcc_lo, 0, v30, vcc_lo
	s_or_b32 vcc_lo, s10, s9
	;; [unrolled: 2-line block ×4, first 2 shown]
	v_add_co_ci_u32_e32 v36, vcc_lo, 0, v36, vcc_lo
	v_cmp_gt_i32_e32 vcc_lo, 31, v23
	v_cndmask_b32_e32 v22, 0x7c00, v22, vcc_lo
	v_cmp_gt_i32_e32 vcc_lo, 31, v25
	v_cndmask_b32_e32 v24, 0x7c00, v24, vcc_lo
	;; [unrolled: 2-line block ×8, first 2 shown]
	v_cmp_eq_u32_e32 vcc_lo, 0x40f, v23
	v_cndmask_b32_e32 v2, v22, v2, vcc_lo
	v_cmp_eq_u32_e32 vcc_lo, 0x40f, v25
	v_and_or_b32 v2, 0x8000, v3, v2
	v_cndmask_b32_e32 v6, v24, v6, vcc_lo
	v_cmp_eq_u32_e32 vcc_lo, 0x40f, v27
	v_and_or_b32 v6, 0x8000, v7, v6
	;; [unrolled: 3-line block ×4, first 2 shown]
	v_cndmask_b32_e32 v4, v30, v4, vcc_lo
	v_cmp_eq_u32_e32 vcc_lo, 0x40f, v33
	v_and_b32_e32 v10, 0xffff, v2
	v_and_b32_e32 v11, 0xffff, v3
	v_and_or_b32 v4, 0x8000, v5, v4
	v_cndmask_b32_e32 v12, v32, v12, vcc_lo
	v_cmp_eq_u32_e32 vcc_lo, 0x40f, v35
	v_lshl_or_b32 v6, v6, 16, v10
	v_lshl_or_b32 v7, v7, 16, v11
	v_and_b32_e32 v4, 0xffff, v4
	v_and_or_b32 v5, 0x8000, v13, v12
	v_cndmask_b32_e32 v14, v34, v14, vcc_lo
	v_cmp_eq_u32_e32 vcc_lo, 0x40f, v37
	v_lshl_or_b32 v4, v5, 16, v4
	v_and_or_b32 v8, 0x8000, v15, v14
	v_cndmask_b32_e32 v16, v36, v16, vcc_lo
	v_add_co_u32 v2, vcc_lo, v20, s16
	v_add_co_ci_u32_e32 v3, vcc_lo, s17, v21, vcc_lo
	v_and_or_b32 v9, 0x8000, v17, v16
	v_and_b32_e32 v8, 0xffff, v8
	v_lshl_or_b32 v5, v9, 16, v8
	global_store_dword v[0:1], v6, off
	global_store_dword v[18:19], v7, off
	;; [unrolled: 1-line block ×4, first 2 shown]
.LBB0_15:
	s_endpgm
	.section	.rodata,"a",@progbits
	.p2align	6, 0x0
	.amdhsa_kernel bluestein_single_back_len484_dim1_half_op_CI_CI
		.amdhsa_group_segment_fixed_size 1936
		.amdhsa_private_segment_fixed_size 0
		.amdhsa_kernarg_size 104
		.amdhsa_user_sgpr_count 6
		.amdhsa_user_sgpr_private_segment_buffer 1
		.amdhsa_user_sgpr_dispatch_ptr 0
		.amdhsa_user_sgpr_queue_ptr 0
		.amdhsa_user_sgpr_kernarg_segment_ptr 1
		.amdhsa_user_sgpr_dispatch_id 0
		.amdhsa_user_sgpr_flat_scratch_init 0
		.amdhsa_user_sgpr_private_segment_size 0
		.amdhsa_wavefront_size32 1
		.amdhsa_uses_dynamic_stack 0
		.amdhsa_system_sgpr_private_segment_wavefront_offset 0
		.amdhsa_system_sgpr_workgroup_id_x 1
		.amdhsa_system_sgpr_workgroup_id_y 0
		.amdhsa_system_sgpr_workgroup_id_z 0
		.amdhsa_system_sgpr_workgroup_info 0
		.amdhsa_system_vgpr_workitem_id 0
		.amdhsa_next_free_vgpr 150
		.amdhsa_next_free_sgpr 18
		.amdhsa_reserve_vcc 1
		.amdhsa_reserve_flat_scratch 0
		.amdhsa_float_round_mode_32 0
		.amdhsa_float_round_mode_16_64 0
		.amdhsa_float_denorm_mode_32 3
		.amdhsa_float_denorm_mode_16_64 3
		.amdhsa_dx10_clamp 1
		.amdhsa_ieee_mode 1
		.amdhsa_fp16_overflow 0
		.amdhsa_workgroup_processor_mode 1
		.amdhsa_memory_ordered 1
		.amdhsa_forward_progress 0
		.amdhsa_shared_vgpr_count 0
		.amdhsa_exception_fp_ieee_invalid_op 0
		.amdhsa_exception_fp_denorm_src 0
		.amdhsa_exception_fp_ieee_div_zero 0
		.amdhsa_exception_fp_ieee_overflow 0
		.amdhsa_exception_fp_ieee_underflow 0
		.amdhsa_exception_fp_ieee_inexact 0
		.amdhsa_exception_int_div_zero 0
	.end_amdhsa_kernel
	.text
.Lfunc_end0:
	.size	bluestein_single_back_len484_dim1_half_op_CI_CI, .Lfunc_end0-bluestein_single_back_len484_dim1_half_op_CI_CI
                                        ; -- End function
	.section	.AMDGPU.csdata,"",@progbits
; Kernel info:
; codeLenInByte = 20464
; NumSgprs: 20
; NumVgprs: 150
; ScratchSize: 0
; MemoryBound: 0
; FloatMode: 240
; IeeeMode: 1
; LDSByteSize: 1936 bytes/workgroup (compile time only)
; SGPRBlocks: 2
; VGPRBlocks: 18
; NumSGPRsForWavesPerEU: 20
; NumVGPRsForWavesPerEU: 150
; Occupancy: 6
; WaveLimiterHint : 1
; COMPUTE_PGM_RSRC2:SCRATCH_EN: 0
; COMPUTE_PGM_RSRC2:USER_SGPR: 6
; COMPUTE_PGM_RSRC2:TRAP_HANDLER: 0
; COMPUTE_PGM_RSRC2:TGID_X_EN: 1
; COMPUTE_PGM_RSRC2:TGID_Y_EN: 0
; COMPUTE_PGM_RSRC2:TGID_Z_EN: 0
; COMPUTE_PGM_RSRC2:TIDIG_COMP_CNT: 0
	.text
	.p2alignl 6, 3214868480
	.fill 48, 4, 3214868480
	.type	__hip_cuid_b7ed90772764d3ae,@object ; @__hip_cuid_b7ed90772764d3ae
	.section	.bss,"aw",@nobits
	.globl	__hip_cuid_b7ed90772764d3ae
__hip_cuid_b7ed90772764d3ae:
	.byte	0                               ; 0x0
	.size	__hip_cuid_b7ed90772764d3ae, 1

	.ident	"AMD clang version 19.0.0git (https://github.com/RadeonOpenCompute/llvm-project roc-6.4.0 25133 c7fe45cf4b819c5991fe208aaa96edf142730f1d)"
	.section	".note.GNU-stack","",@progbits
	.addrsig
	.addrsig_sym __hip_cuid_b7ed90772764d3ae
	.amdgpu_metadata
---
amdhsa.kernels:
  - .args:
      - .actual_access:  read_only
        .address_space:  global
        .offset:         0
        .size:           8
        .value_kind:     global_buffer
      - .actual_access:  read_only
        .address_space:  global
        .offset:         8
        .size:           8
        .value_kind:     global_buffer
      - .actual_access:  read_only
        .address_space:  global
        .offset:         16
        .size:           8
        .value_kind:     global_buffer
      - .actual_access:  read_only
        .address_space:  global
        .offset:         24
        .size:           8
        .value_kind:     global_buffer
      - .actual_access:  read_only
        .address_space:  global
        .offset:         32
        .size:           8
        .value_kind:     global_buffer
      - .offset:         40
        .size:           8
        .value_kind:     by_value
      - .address_space:  global
        .offset:         48
        .size:           8
        .value_kind:     global_buffer
      - .address_space:  global
        .offset:         56
        .size:           8
        .value_kind:     global_buffer
      - .address_space:  global
        .offset:         64
        .size:           8
        .value_kind:     global_buffer
      - .address_space:  global
        .offset:         72
        .size:           8
        .value_kind:     global_buffer
      - .offset:         80
        .size:           4
        .value_kind:     by_value
      - .address_space:  global
        .offset:         88
        .size:           8
        .value_kind:     global_buffer
      - .address_space:  global
        .offset:         96
        .size:           8
        .value_kind:     global_buffer
    .group_segment_fixed_size: 1936
    .kernarg_segment_align: 8
    .kernarg_segment_size: 104
    .language:       OpenCL C
    .language_version:
      - 2
      - 0
    .max_flat_workgroup_size: 44
    .name:           bluestein_single_back_len484_dim1_half_op_CI_CI
    .private_segment_fixed_size: 0
    .sgpr_count:     20
    .sgpr_spill_count: 0
    .symbol:         bluestein_single_back_len484_dim1_half_op_CI_CI.kd
    .uniform_work_group_size: 1
    .uses_dynamic_stack: false
    .vgpr_count:     150
    .vgpr_spill_count: 0
    .wavefront_size: 32
    .workgroup_processor_mode: 1
amdhsa.target:   amdgcn-amd-amdhsa--gfx1030
amdhsa.version:
  - 1
  - 2
...

	.end_amdgpu_metadata
